;; amdgpu-corpus repo=ggml-org/llama.cpp kind=compiled arch=gfx950 opt=O3
	.amdgcn_target "amdgcn-amd-amdhsa--gfx950"
	.amdhsa_code_object_version 6
	.section	.text._ZL12rwkv_wkv_f32ILi64EEviiiiPKfS1_S1_S1_S1_S1_Pf,"axG",@progbits,_ZL12rwkv_wkv_f32ILi64EEviiiiPKfS1_S1_S1_S1_S1_Pf,comdat
	.globl	_ZL12rwkv_wkv_f32ILi64EEviiiiPKfS1_S1_S1_S1_S1_Pf ; -- Begin function _ZL12rwkv_wkv_f32ILi64EEviiiiPKfS1_S1_S1_S1_S1_Pf
	.p2align	8
	.type	_ZL12rwkv_wkv_f32ILi64EEviiiiPKfS1_S1_S1_S1_S1_Pf,@function
_ZL12rwkv_wkv_f32ILi64EEviiiiPKfS1_S1_S1_S1_S1_Pf: ; @_ZL12rwkv_wkv_f32ILi64EEviiiiPKfS1_S1_S1_S1_S1_Pf
; %bb.0:
	s_load_dwordx4 s[20:23], s[0:1], 0x0
	s_load_dwordx8 s[4:11], s[0:1], 0x30
	s_waitcnt lgkmcnt(0)
	s_abs_i32 s10, s2
	s_abs_i32 s3, s23
	v_cvt_f32_u32_e32 v1, s3
	s_sub_i32 s12, 0, s3
	s_xor_b32 s11, s2, s23
	s_ashr_i32 s11, s11, 31
	v_rcp_iflag_f32_e32 v1, v1
	s_nop 0
	v_mul_f32_e32 v1, 0x4f7ffffe, v1
	v_cvt_u32_f32_e32 v1, v1
	s_nop 0
	v_readfirstlane_b32 s13, v1
	s_mul_i32 s12, s12, s13
	s_mul_hi_u32 s12, s13, s12
	s_add_i32 s13, s13, s12
	s_mul_hi_u32 s12, s10, s13
	s_mul_i32 s13, s12, s3
	s_sub_i32 s10, s10, s13
	s_add_i32 s14, s12, 1
	s_sub_i32 s13, s10, s3
	s_cmp_ge_u32 s10, s3
	s_cselect_b32 s12, s14, s12
	s_cselect_b32 s10, s13, s10
	s_add_i32 s13, s12, 1
	s_cmp_ge_u32 s10, s3
	s_cselect_b32 s3, s13, s12
	s_xor_b32 s3, s3, s11
	s_sub_i32 s3, s3, s11
	s_mul_i32 s10, s3, s23
	s_mul_i32 s11, s22, s3
	s_sub_i32 s2, s2, s10
	s_lshl_b32 s10, s11, 6
	s_lshl_b32 s11, s2, 12
	s_add_i32 s11, s11, s10
	v_add_u32_e32 v28, s11, v0
	v_add_u32_e32 v30, 0x540, v28
	v_ashrrev_i32_e32 v29, 31, v28
	v_ashrrev_i32_e32 v31, 31, v30
	v_lshl_add_u64 v[2:3], v[28:29], 2, s[6:7]
	v_lshl_add_u64 v[34:35], v[30:31], 2, s[6:7]
	v_add_u32_e32 v30, 0x580, v28
	global_load_dword v26, v[2:3], off
	global_load_dword v27, v[2:3], off offset:256
	global_load_dword v24, v[2:3], off offset:512
	;; [unrolled: 1-line block ×15, first 2 shown]
	v_add_u32_e32 v2, 0x400, v28
	v_ashrrev_i32_e32 v31, 31, v30
	v_ashrrev_i32_e32 v3, 31, v2
	v_add_u32_e32 v4, 0x440, v28
	v_add_u32_e32 v6, 0x480, v28
	;; [unrolled: 1-line block ×4, first 2 shown]
	v_lshl_add_u64 v[38:39], v[30:31], 2, s[6:7]
	v_add_u32_e32 v30, 0x5c0, v28
	v_lshl_add_u64 v[2:3], v[2:3], 2, s[6:7]
	v_ashrrev_i32_e32 v5, 31, v4
	v_ashrrev_i32_e32 v7, 31, v6
	;; [unrolled: 1-line block ×5, first 2 shown]
	v_lshl_add_u64 v[4:5], v[4:5], 2, s[6:7]
	v_lshl_add_u64 v[6:7], v[6:7], 2, s[6:7]
	;; [unrolled: 1-line block ×5, first 2 shown]
	global_load_dword v42, v[2:3], off
	global_load_dword v43, v[4:5], off
	;; [unrolled: 1-line block ×8, first 2 shown]
	v_add_u32_e32 v34, 0x740, v28
	v_ashrrev_i32_e32 v35, 31, v34
	v_lshl_add_u64 v[40:41], v[34:35], 2, s[6:7]
	v_add_u32_e32 v34, 0x780, v28
	v_add_u32_e32 v2, 0x600, v28
	v_ashrrev_i32_e32 v35, 31, v34
	v_ashrrev_i32_e32 v3, 31, v2
	v_add_u32_e32 v4, 0x640, v28
	v_add_u32_e32 v6, 0x680, v28
	;; [unrolled: 1-line block ×4, first 2 shown]
	v_lshl_add_u64 v[46:47], v[34:35], 2, s[6:7]
	v_add_u32_e32 v34, 0x7c0, v28
	v_lshl_add_u64 v[2:3], v[2:3], 2, s[6:7]
	v_ashrrev_i32_e32 v5, 31, v4
	v_ashrrev_i32_e32 v7, 31, v6
	;; [unrolled: 1-line block ×5, first 2 shown]
	v_lshl_add_u64 v[4:5], v[4:5], 2, s[6:7]
	v_lshl_add_u64 v[6:7], v[6:7], 2, s[6:7]
	;; [unrolled: 1-line block ×5, first 2 shown]
	global_load_dword v48, v[2:3], off
	global_load_dword v49, v[4:5], off
	;; [unrolled: 1-line block ×8, first 2 shown]
	v_add_u32_e32 v40, 0x940, v28
	v_ashrrev_i32_e32 v41, 31, v40
	v_lshl_add_u64 v[52:53], v[40:41], 2, s[6:7]
	v_add_u32_e32 v40, 0x980, v28
	v_add_u32_e32 v2, 0x800, v28
	v_ashrrev_i32_e32 v41, 31, v40
	v_ashrrev_i32_e32 v3, 31, v2
	v_add_u32_e32 v4, 0x840, v28
	v_add_u32_e32 v6, 0x880, v28
	;; [unrolled: 1-line block ×4, first 2 shown]
	v_lshl_add_u64 v[54:55], v[40:41], 2, s[6:7]
	v_add_u32_e32 v40, 0x9c0, v28
	v_lshl_add_u64 v[2:3], v[2:3], 2, s[6:7]
	v_ashrrev_i32_e32 v5, 31, v4
	v_ashrrev_i32_e32 v7, 31, v6
	;; [unrolled: 1-line block ×5, first 2 shown]
	v_lshl_add_u64 v[4:5], v[4:5], 2, s[6:7]
	v_lshl_add_u64 v[6:7], v[6:7], 2, s[6:7]
	;; [unrolled: 1-line block ×5, first 2 shown]
	global_load_dword v56, v[2:3], off
	global_load_dword v57, v[4:5], off
	;; [unrolled: 1-line block ×8, first 2 shown]
	v_add_u32_e32 v54, 0xb80, v28
	v_ashrrev_i32_e32 v55, 31, v54
	v_add_u32_e32 v2, 0xa00, v28
	v_add_u32_e32 v52, 0xb40, v28
	v_lshl_add_u64 v[60:61], v[54:55], 2, s[6:7]
	v_add_u32_e32 v54, 0xbc0, v28
	v_ashrrev_i32_e32 v3, 31, v2
	v_add_u32_e32 v4, 0xa40, v28
	v_add_u32_e32 v6, 0xa80, v28
	;; [unrolled: 1-line block ×4, first 2 shown]
	v_ashrrev_i32_e32 v53, 31, v52
	v_ashrrev_i32_e32 v55, 31, v54
	v_lshl_add_u64 v[2:3], v[2:3], 2, s[6:7]
	v_ashrrev_i32_e32 v5, 31, v4
	v_ashrrev_i32_e32 v7, 31, v6
	;; [unrolled: 1-line block ×4, first 2 shown]
	v_lshl_add_u64 v[52:53], v[52:53], 2, s[6:7]
	v_lshl_add_u64 v[62:63], v[54:55], 2, s[6:7]
	;; [unrolled: 1-line block ×6, first 2 shown]
	global_load_dword v64, v[2:3], off
	global_load_dword v65, v[4:5], off
	;; [unrolled: 1-line block ×6, first 2 shown]
                                        ; kill: killed $vgpr52_vgpr53
                                        ; kill: killed $vgpr10_vgpr11
                                        ; kill: killed $vgpr8_vgpr9
                                        ; kill: killed $vgpr6_vgpr7
                                        ; kill: killed $vgpr4_vgpr5
                                        ; kill: killed $vgpr2_vgpr3
	s_nop 0
	global_load_dword v52, v[60:61], off
	global_load_dword v53, v[62:63], off
	v_add_u32_e32 v62, 0xd80, v28
	v_ashrrev_i32_e32 v63, 31, v62
	v_add_u32_e32 v2, 0xc00, v28
	v_add_u32_e32 v60, 0xd40, v28
	v_lshl_add_u64 v[66:67], v[62:63], 2, s[6:7]
	v_add_u32_e32 v62, 0xdc0, v28
	v_ashrrev_i32_e32 v3, 31, v2
	v_add_u32_e32 v4, 0xc40, v28
	v_add_u32_e32 v6, 0xc80, v28
	;; [unrolled: 1-line block ×4, first 2 shown]
	v_ashrrev_i32_e32 v61, 31, v60
	v_ashrrev_i32_e32 v63, 31, v62
	v_lshl_add_u64 v[2:3], v[2:3], 2, s[6:7]
	v_ashrrev_i32_e32 v5, 31, v4
	v_ashrrev_i32_e32 v7, 31, v6
	;; [unrolled: 1-line block ×4, first 2 shown]
	v_lshl_add_u64 v[60:61], v[60:61], 2, s[6:7]
	v_lshl_add_u64 v[70:71], v[62:63], 2, s[6:7]
	;; [unrolled: 1-line block ×6, first 2 shown]
	global_load_dword v72, v[2:3], off
	global_load_dword v73, v[4:5], off
	;; [unrolled: 1-line block ×6, first 2 shown]
                                        ; kill: killed $vgpr10_vgpr11
                                        ; kill: killed $vgpr60_vgpr61
	s_nop 0
	global_load_dword v60, v[66:67], off
	global_load_dword v61, v[70:71], off
	v_add_u32_e32 v70, 0xf80, v28
	v_add_u32_e32 v2, 0xe00, v28
	;; [unrolled: 1-line block ×3, first 2 shown]
	v_ashrrev_i32_e32 v71, 31, v70
	v_ashrrev_i32_e32 v3, 31, v2
	v_add_u32_e32 v4, 0xe40, v28
	v_add_u32_e32 v6, 0xe80, v28
	;; [unrolled: 1-line block ×4, first 2 shown]
	v_ashrrev_i32_e32 v67, 31, v66
	v_lshl_add_u64 v[78:79], v[70:71], 2, s[6:7]
	v_add_u32_e32 v70, 0xfc0, v28
	v_lshl_add_u64 v[2:3], v[2:3], 2, s[6:7]
	v_ashrrev_i32_e32 v5, 31, v4
	v_ashrrev_i32_e32 v7, 31, v6
	;; [unrolled: 1-line block ×4, first 2 shown]
	v_lshl_add_u64 v[66:67], v[66:67], 2, s[6:7]
	v_ashrrev_i32_e32 v71, 31, v70
	s_load_dwordx8 s[12:19], s[0:1], 0x10
	v_lshl_add_u64 v[4:5], v[4:5], 2, s[6:7]
	v_lshl_add_u64 v[6:7], v[6:7], 2, s[6:7]
	;; [unrolled: 1-line block ×5, first 2 shown]
	global_load_dword v76, v[2:3], off
	global_load_dword v77, v[4:5], off
	;; [unrolled: 1-line block ×6, first 2 shown]
	s_nop 0
	global_load_dword v66, v[78:79], off
	global_load_dword v67, v[80:81], off
	v_lshl_add_u32 v4, s2, 6, v0
	s_waitcnt lgkmcnt(0)
	v_mov_b32_e32 v2, s18
	v_mov_b32_e32 v3, s19
	v_ashrrev_i32_e32 v5, 31, v4
	v_lshl_add_u64 v[2:3], v[4:5], 2, v[2:3]
	s_waitcnt vmcnt(63) expcnt(7) lgkmcnt(15)
	s_barrier
	global_load_dword v1, v[2:3], off
	s_abs_i32 s0, s20
	v_cvt_f32_u32_e32 v2, s0
	s_sub_i32 s7, 0, s0
	s_abs_i32 s6, s21
	s_xor_b32 s2, s21, s20
	v_rcp_iflag_f32_e32 v2, v2
	s_ashr_i32 s2, s2, 31
	v_lshlrev_b32_e32 v29, 2, v0
	v_mul_f32_e32 v2, 0x4f7ffffe, v2
	v_cvt_u32_f32_e32 v2, v2
	s_waitcnt vmcnt(0)
	ds_write_b32 v29, v1 offset:768
	v_readfirstlane_b32 s1, v2
	s_mul_i32 s7, s7, s1
	s_mul_hi_u32 s7, s1, s7
	s_add_i32 s1, s1, s7
	s_mul_hi_u32 s1, s6, s1
	s_mul_i32 s7, s1, s0
	s_sub_i32 s6, s6, s7
	s_add_i32 s7, s1, 1
	s_sub_i32 s10, s6, s0
	s_cmp_ge_u32 s6, s0
	s_cselect_b32 s1, s7, s1
	s_cselect_b32 s6, s10, s6
	s_add_i32 s7, s1, 1
	s_cmp_ge_u32 s6, s0
	s_cselect_b32 s0, s7, s1
	s_xor_b32 s0, s0, s2
	s_sub_i32 s0, s0, s2
	s_mul_i32 s0, s0, s22
	s_mul_i32 s1, s0, s3
	s_add_i32 s3, s3, 1
	s_mul_i32 s0, s0, s3
	v_add_u32_e32 v83, s0, v4
	v_add_u32_e32 v78, s1, v4
	v_cmp_lt_i32_e32 vcc, v78, v83
	s_waitcnt lgkmcnt(0)
	s_barrier
	s_and_saveexec_b64 s[0:1], vcc
	s_cbranch_execz .LBB0_4
; %bb.1:
	v_ashrrev_i32_e32 v79, 31, v78
	s_ashr_i32 s23, s22, 31
	v_add_u32_e32 v84, 0x100, v29
	v_add_u32_e32 v85, 0x200, v29
	v_lshlrev_b64 v[80:81], 2, v[78:79]
	s_lshl_b64 s[6:7], s[22:23], 2
	s_mov_b64 s[2:3], 0
	v_mov_b32_e32 v79, 0
.LBB0_2:                                ; =>This Inner Loop Header: Depth=1
	v_lshl_add_u64 v[0:1], s[12:13], 0, v[80:81]
	s_barrier
	global_load_dword v0, v[0:1], off
	v_mov_b32_e32 v98, v26
	v_add_u32_e32 v78, s22, v78
	v_cmp_ge_i32_e32 vcc, v78, v83
	s_or_b64 s[2:3], vcc, s[2:3]
	s_waitcnt vmcnt(0)
	ds_write_b32 v29, v0
	v_lshl_add_u64 v[0:1], s[16:17], 0, v[80:81]
	global_load_dword v0, v[0:1], off
	s_waitcnt vmcnt(0)
	ds_write_b32 v84, v0
	v_lshl_add_u64 v[0:1], s[4:5], 0, v[80:81]
	global_load_dword v0, v[0:1], off
	s_waitcnt vmcnt(0)
	ds_write_b32 v85, v0
	v_lshl_add_u64 v[0:1], s[14:15], 0, v[80:81]
	s_waitcnt lgkmcnt(0)
	s_barrier
	global_load_dword v82, v[0:1], off
	ds_read_b128 v[8:11], v79 offset:256
	ds_read_b128 v[86:89], v79 offset:768
	ds_read_b128 v[90:93], v79
	ds_read_b128 v[94:97], v79 offset:16
	ds_read_b128 v[4:7], v79 offset:32
	;; [unrolled: 1-line block ×3, first 2 shown]
	s_waitcnt vmcnt(0) lgkmcnt(3)
	v_pk_mul_f32 v[90:91], v[82:83], v[90:91] op_sel_hi:[0,1]
	v_fmac_f32_e32 v98, v90, v86
	v_fma_f32 v86, v8, v98, 0
	v_mov_b32_e32 v8, v27
	v_fmac_f32_e32 v8, v91, v87
	ds_read_b128 v[98:101], v79 offset:512
	v_fmac_f32_e32 v86, v9, v8
	v_pk_mul_f32 v[8:9], v[82:83], v[92:93] op_sel_hi:[0,1]
	v_mov_b32_e32 v87, v24
	v_fmac_f32_e32 v87, v8, v88
	v_fmac_f32_e32 v86, v10, v87
	v_mov_b32_e32 v10, v25
	v_fmac_f32_e32 v10, v9, v89
	s_waitcnt lgkmcnt(0)
	v_pk_fma_f32 v[26:27], v[26:27], v[98:99], v[90:91]
	v_fmac_f32_e32 v86, v11, v10
	v_pk_fma_f32 v[24:25], v[24:25], v[100:101], v[8:9]
	ds_read_b128 v[8:11], v79 offset:272
	ds_read_b128 v[88:91], v79 offset:784
	v_pk_mul_f32 v[98:99], v[82:83], v[94:95] op_sel_hi:[0,1]
	v_mov_b32_e32 v87, v22
	ds_read_b128 v[92:95], v79 offset:528
	v_pk_mul_f32 v[4:5], v[82:83], v[4:5] op_sel_hi:[0,1]
	s_waitcnt lgkmcnt(1)
	v_fmac_f32_e32 v87, v98, v88
	v_fmac_f32_e32 v86, v8, v87
	v_mov_b32_e32 v8, v23
	v_fmac_f32_e32 v8, v99, v89
	v_fmac_f32_e32 v86, v9, v8
	v_pk_mul_f32 v[8:9], v[82:83], v[96:97] op_sel_hi:[0,1]
	v_mov_b32_e32 v87, v20
	v_fmac_f32_e32 v87, v8, v90
	v_fmac_f32_e32 v86, v10, v87
	v_mov_b32_e32 v10, v21
	v_fmac_f32_e32 v10, v9, v91
	v_fmac_f32_e32 v86, v11, v10
	s_waitcnt lgkmcnt(0)
	v_pk_fma_f32 v[20:21], v[20:21], v[94:95], v[8:9]
	ds_read_b128 v[8:11], v79 offset:288
	ds_read_b128 v[88:91], v79 offset:800
	v_pk_fma_f32 v[22:23], v[22:23], v[92:93], v[98:99]
	ds_read_b128 v[92:95], v79 offset:544
	v_mov_b32_e32 v87, v18
	v_pk_mul_f32 v[0:1], v[82:83], v[0:1] op_sel_hi:[0,1]
	s_waitcnt lgkmcnt(1)
	v_fmac_f32_e32 v87, v4, v88
	v_fmac_f32_e32 v86, v8, v87
	v_mov_b32_e32 v8, v19
	v_fmac_f32_e32 v8, v5, v89
	s_waitcnt lgkmcnt(0)
	v_pk_fma_f32 v[18:19], v[18:19], v[92:93], v[4:5]
	v_pk_mul_f32 v[4:5], v[82:83], v[6:7] op_sel_hi:[0,1]
	v_mov_b32_e32 v6, v16
	v_fmac_f32_e32 v86, v9, v8
	v_fmac_f32_e32 v6, v4, v90
	;; [unrolled: 1-line block ×3, first 2 shown]
	v_mov_b32_e32 v6, v17
	v_fmac_f32_e32 v6, v5, v91
	v_fmac_f32_e32 v86, v11, v6
	v_pk_fma_f32 v[16:17], v[16:17], v[94:95], v[4:5]
	ds_read_b128 v[4:7], v79 offset:304
	ds_read_b128 v[8:11], v79 offset:816
	;; [unrolled: 1-line block ×3, first 2 shown]
	v_mov_b32_e32 v87, v14
	s_waitcnt lgkmcnt(1)
	v_fmac_f32_e32 v87, v0, v8
	v_fmac_f32_e32 v86, v4, v87
	v_mov_b32_e32 v4, v15
	v_fmac_f32_e32 v4, v1, v9
	s_waitcnt lgkmcnt(0)
	v_pk_fma_f32 v[14:15], v[14:15], v[88:89], v[0:1]
	v_pk_mul_f32 v[0:1], v[82:83], v[2:3] op_sel_hi:[0,1]
	v_mov_b32_e32 v2, v12
	v_fmac_f32_e32 v86, v5, v4
	v_fmac_f32_e32 v2, v0, v10
	;; [unrolled: 1-line block ×3, first 2 shown]
	v_mov_b32_e32 v2, v13
	v_fmac_f32_e32 v2, v1, v11
	v_fmac_f32_e32 v86, v7, v2
	v_pk_fma_f32 v[12:13], v[12:13], v[90:91], v[0:1]
	ds_read_b128 v[0:3], v79 offset:320
	ds_read_b128 v[4:7], v79 offset:832
	ds_read_b128 v[8:11], v79 offset:64
	v_mov_b32_e32 v87, v42
	ds_read_b128 v[88:91], v79 offset:576
	s_waitcnt lgkmcnt(1)
	v_pk_mul_f32 v[8:9], v[82:83], v[8:9] op_sel_hi:[0,1]
	v_fmac_f32_e32 v87, v8, v4
	v_fmac_f32_e32 v86, v0, v87
	v_mov_b32_e32 v0, v43
	v_fmac_f32_e32 v0, v9, v5
	v_fmac_f32_e32 v86, v1, v0
	v_pk_mul_f32 v[0:1], v[82:83], v[10:11] op_sel_hi:[0,1]
	v_mov_b32_e32 v4, v36
	v_fmac_f32_e32 v4, v0, v6
	v_fmac_f32_e32 v86, v2, v4
	v_mov_b32_e32 v2, v37
	v_fmac_f32_e32 v2, v1, v7
	s_waitcnt lgkmcnt(0)
	v_pk_fma_f32 v[42:43], v[42:43], v[88:89], v[8:9]
	v_fmac_f32_e32 v86, v3, v2
	v_pk_fma_f32 v[36:37], v[36:37], v[90:91], v[0:1]
	ds_read_b128 v[0:3], v79 offset:336
	ds_read_b128 v[4:7], v79 offset:848
	ds_read_b128 v[8:11], v79 offset:80
	v_mov_b32_e32 v87, v32
	ds_read_b128 v[88:91], v79 offset:592
	s_waitcnt lgkmcnt(1)
	v_pk_mul_f32 v[8:9], v[82:83], v[8:9] op_sel_hi:[0,1]
	v_fmac_f32_e32 v87, v8, v4
	v_fmac_f32_e32 v86, v0, v87
	v_mov_b32_e32 v0, v33
	v_fmac_f32_e32 v0, v9, v5
	v_fmac_f32_e32 v86, v1, v0
	v_pk_mul_f32 v[0:1], v[82:83], v[10:11] op_sel_hi:[0,1]
	v_mov_b32_e32 v4, v30
	v_fmac_f32_e32 v4, v0, v6
	v_fmac_f32_e32 v86, v2, v4
	v_mov_b32_e32 v2, v31
	v_fmac_f32_e32 v2, v1, v7
	s_waitcnt lgkmcnt(0)
	v_pk_fma_f32 v[32:33], v[32:33], v[88:89], v[8:9]
	;; [unrolled: 22-line block ×8, first 2 shown]
	v_fmac_f32_e32 v86, v3, v2
	v_pk_fma_f32 v[52:53], v[52:53], v[90:91], v[0:1]
	ds_read_b128 v[0:3], v79 offset:448
	ds_read_b128 v[4:7], v79 offset:960
	;; [unrolled: 1-line block ×3, first 2 shown]
	v_mov_b32_e32 v87, v72
	ds_read_b128 v[88:91], v79 offset:704
	s_waitcnt lgkmcnt(1)
	v_pk_mul_f32 v[8:9], v[82:83], v[8:9] op_sel_hi:[0,1]
	v_fmac_f32_e32 v87, v8, v4
	v_fmac_f32_e32 v86, v0, v87
	v_mov_b32_e32 v0, v73
	v_fmac_f32_e32 v0, v9, v5
	v_fmac_f32_e32 v86, v1, v0
	v_pk_mul_f32 v[0:1], v[82:83], v[10:11] op_sel_hi:[0,1]
	v_mov_b32_e32 v4, v68
	v_fmac_f32_e32 v4, v0, v6
	v_fmac_f32_e32 v86, v2, v4
	v_mov_b32_e32 v2, v69
	v_fmac_f32_e32 v2, v1, v7
	v_fmac_f32_e32 v86, v3, v2
	s_waitcnt lgkmcnt(0)
	v_pk_fma_f32 v[68:69], v[68:69], v[90:91], v[0:1]
	ds_read_b128 v[0:3], v79 offset:208
	v_pk_fma_f32 v[72:73], v[72:73], v[88:89], v[8:9]
	ds_read_b128 v[4:7], v79 offset:464
	ds_read_b128 v[8:11], v79 offset:976
	s_waitcnt lgkmcnt(2)
	v_pk_mul_f32 v[0:1], v[82:83], v[0:1] op_sel_hi:[0,1]
	s_waitcnt lgkmcnt(0)
	v_pk_fma_f32 v[8:9], v[0:1], v[8:9], v[62:63]
	s_nop 0
	v_pk_mul_f32 v[4:5], v[4:5], v[8:9]
	s_nop 0
	v_add_f32_e32 v4, v86, v4
	ds_read_b128 v[86:89], v79 offset:720
	v_add_f32_e32 v4, v4, v5
	s_waitcnt lgkmcnt(0)
	v_pk_fma_f32 v[62:63], v[62:63], v[86:87], v[0:1]
	v_pk_mul_f32 v[0:1], v[82:83], v[2:3] op_sel_hi:[0,1]
	v_pk_fma_f32 v[2:3], v[0:1], v[10:11], v[60:61]
	v_pk_fma_f32 v[60:61], v[60:61], v[88:89], v[0:1]
	v_pk_mul_f32 v[2:3], v[6:7], v[2:3]
	s_nop 0
	v_add_f32_e32 v2, v4, v2
	v_add_f32_e32 v86, v2, v3
	ds_read_b128 v[0:3], v79 offset:224
	ds_read_b128 v[4:7], v79 offset:480
	;; [unrolled: 1-line block ×3, first 2 shown]
	s_waitcnt lgkmcnt(2)
	v_pk_mul_f32 v[0:1], v[82:83], v[0:1] op_sel_hi:[0,1]
	s_waitcnt lgkmcnt(0)
	v_pk_fma_f32 v[8:9], v[0:1], v[8:9], v[76:77]
	s_nop 0
	v_pk_mul_f32 v[4:5], v[4:5], v[8:9]
	s_nop 0
	v_add_f32_e32 v4, v86, v4
	ds_read_b128 v[86:89], v79 offset:736
	v_add_f32_e32 v4, v4, v5
	s_waitcnt lgkmcnt(0)
	v_pk_fma_f32 v[76:77], v[76:77], v[86:87], v[0:1]
	v_pk_mul_f32 v[0:1], v[82:83], v[2:3] op_sel_hi:[0,1]
	v_pk_fma_f32 v[2:3], v[0:1], v[10:11], v[74:75]
	v_pk_fma_f32 v[74:75], v[74:75], v[88:89], v[0:1]
	v_pk_mul_f32 v[2:3], v[6:7], v[2:3]
	s_nop 0
	v_add_f32_e32 v2, v4, v2
	v_add_f32_e32 v86, v2, v3
	ds_read_b128 v[0:3], v79 offset:240
	ds_read_b128 v[4:7], v79 offset:496
	;; [unrolled: 1-line block ×3, first 2 shown]
	s_waitcnt lgkmcnt(2)
	v_pk_mul_f32 v[0:1], v[82:83], v[0:1] op_sel_hi:[0,1]
	s_waitcnt lgkmcnt(0)
	v_pk_fma_f32 v[8:9], v[0:1], v[8:9], v[70:71]
	s_nop 0
	v_pk_mul_f32 v[4:5], v[4:5], v[8:9]
	s_nop 0
	v_add_f32_e32 v4, v86, v4
	ds_read_b128 v[86:89], v79 offset:752
	v_add_f32_e32 v4, v4, v5
	s_waitcnt lgkmcnt(0)
	v_pk_fma_f32 v[70:71], v[70:71], v[86:87], v[0:1]
	v_pk_mul_f32 v[0:1], v[82:83], v[2:3] op_sel_hi:[0,1]
	v_pk_fma_f32 v[2:3], v[0:1], v[10:11], v[66:67]
	v_pk_fma_f32 v[66:67], v[66:67], v[88:89], v[0:1]
	v_pk_mul_f32 v[2:3], v[6:7], v[2:3]
	v_lshl_add_u64 v[0:1], s[8:9], 0, v[80:81]
	v_add_f32_e32 v2, v4, v2
	v_add_f32_e32 v2, v2, v3
	v_lshl_add_u64 v[80:81], v[80:81], 0, s[6:7]
	global_store_dword v[0:1], v2, off
	s_andn2_b64 exec, exec, s[2:3]
	s_cbranch_execnz .LBB0_2
; %bb.3:
	s_or_b64 exec, exec, s[2:3]
.LBB0_4:
	s_or_b64 exec, exec, s[0:1]
	s_mul_i32 s0, s22, s21
	v_add_u32_e32 v0, s0, v28
	v_ashrrev_i32_e32 v1, 31, v0
	v_lshl_add_u64 v[2:3], v[0:1], 2, s[8:9]
	global_store_dword v[2:3], v26, off
	global_store_dword v[2:3], v27, off offset:256
	global_store_dword v[2:3], v24, off offset:512
	;; [unrolled: 1-line block ×15, first 2 shown]
	v_add_u32_e32 v2, 0x400, v0
	v_ashrrev_i32_e32 v3, 31, v2
	v_lshl_add_u64 v[2:3], v[2:3], 2, s[8:9]
	global_store_dword v[2:3], v42, off
	v_add_u32_e32 v2, 0x440, v0
	v_ashrrev_i32_e32 v3, 31, v2
	v_lshl_add_u64 v[2:3], v[2:3], 2, s[8:9]
	global_store_dword v[2:3], v43, off
	;; [unrolled: 4-line block ×46, first 2 shown]
	v_add_u32_e32 v2, 0xf80, v0
	v_add_u32_e32 v0, 0xfc0, v0
	v_ashrrev_i32_e32 v3, 31, v2
	v_ashrrev_i32_e32 v1, 31, v0
	v_lshl_add_u64 v[2:3], v[2:3], 2, s[8:9]
	v_lshl_add_u64 v[0:1], v[0:1], 2, s[8:9]
	global_store_dword v[2:3], v66, off
	global_store_dword v[0:1], v67, off
	s_endpgm
	.section	.rodata,"a",@progbits
	.p2align	6, 0x0
	.amdhsa_kernel _ZL12rwkv_wkv_f32ILi64EEviiiiPKfS1_S1_S1_S1_S1_Pf
		.amdhsa_group_segment_fixed_size 1024
		.amdhsa_private_segment_fixed_size 0
		.amdhsa_kernarg_size 72
		.amdhsa_user_sgpr_count 2
		.amdhsa_user_sgpr_dispatch_ptr 0
		.amdhsa_user_sgpr_queue_ptr 0
		.amdhsa_user_sgpr_kernarg_segment_ptr 1
		.amdhsa_user_sgpr_dispatch_id 0
		.amdhsa_user_sgpr_kernarg_preload_length 0
		.amdhsa_user_sgpr_kernarg_preload_offset 0
		.amdhsa_user_sgpr_private_segment_size 0
		.amdhsa_uses_dynamic_stack 0
		.amdhsa_enable_private_segment 0
		.amdhsa_system_sgpr_workgroup_id_x 1
		.amdhsa_system_sgpr_workgroup_id_y 0
		.amdhsa_system_sgpr_workgroup_id_z 0
		.amdhsa_system_sgpr_workgroup_info 0
		.amdhsa_system_vgpr_workitem_id 0
		.amdhsa_next_free_vgpr 102
		.amdhsa_next_free_sgpr 24
		.amdhsa_accum_offset 104
		.amdhsa_reserve_vcc 1
		.amdhsa_float_round_mode_32 0
		.amdhsa_float_round_mode_16_64 0
		.amdhsa_float_denorm_mode_32 3
		.amdhsa_float_denorm_mode_16_64 3
		.amdhsa_dx10_clamp 1
		.amdhsa_ieee_mode 1
		.amdhsa_fp16_overflow 0
		.amdhsa_tg_split 0
		.amdhsa_exception_fp_ieee_invalid_op 0
		.amdhsa_exception_fp_denorm_src 0
		.amdhsa_exception_fp_ieee_div_zero 0
		.amdhsa_exception_fp_ieee_overflow 0
		.amdhsa_exception_fp_ieee_underflow 0
		.amdhsa_exception_fp_ieee_inexact 0
		.amdhsa_exception_int_div_zero 0
	.end_amdhsa_kernel
	.section	.text._ZL12rwkv_wkv_f32ILi64EEviiiiPKfS1_S1_S1_S1_S1_Pf,"axG",@progbits,_ZL12rwkv_wkv_f32ILi64EEviiiiPKfS1_S1_S1_S1_S1_Pf,comdat
.Lfunc_end0:
	.size	_ZL12rwkv_wkv_f32ILi64EEviiiiPKfS1_S1_S1_S1_S1_Pf, .Lfunc_end0-_ZL12rwkv_wkv_f32ILi64EEviiiiPKfS1_S1_S1_S1_S1_Pf
                                        ; -- End function
	.set _ZL12rwkv_wkv_f32ILi64EEviiiiPKfS1_S1_S1_S1_S1_Pf.num_vgpr, 102
	.set _ZL12rwkv_wkv_f32ILi64EEviiiiPKfS1_S1_S1_S1_S1_Pf.num_agpr, 0
	.set _ZL12rwkv_wkv_f32ILi64EEviiiiPKfS1_S1_S1_S1_S1_Pf.numbered_sgpr, 24
	.set _ZL12rwkv_wkv_f32ILi64EEviiiiPKfS1_S1_S1_S1_S1_Pf.num_named_barrier, 0
	.set _ZL12rwkv_wkv_f32ILi64EEviiiiPKfS1_S1_S1_S1_S1_Pf.private_seg_size, 0
	.set _ZL12rwkv_wkv_f32ILi64EEviiiiPKfS1_S1_S1_S1_S1_Pf.uses_vcc, 1
	.set _ZL12rwkv_wkv_f32ILi64EEviiiiPKfS1_S1_S1_S1_S1_Pf.uses_flat_scratch, 0
	.set _ZL12rwkv_wkv_f32ILi64EEviiiiPKfS1_S1_S1_S1_S1_Pf.has_dyn_sized_stack, 0
	.set _ZL12rwkv_wkv_f32ILi64EEviiiiPKfS1_S1_S1_S1_S1_Pf.has_recursion, 0
	.set _ZL12rwkv_wkv_f32ILi64EEviiiiPKfS1_S1_S1_S1_S1_Pf.has_indirect_call, 0
	.section	.AMDGPU.csdata,"",@progbits
; Kernel info:
; codeLenInByte = 5556
; TotalNumSgprs: 30
; NumVgprs: 102
; NumAgprs: 0
; TotalNumVgprs: 102
; ScratchSize: 0
; MemoryBound: 0
; FloatMode: 240
; IeeeMode: 1
; LDSByteSize: 1024 bytes/workgroup (compile time only)
; SGPRBlocks: 3
; VGPRBlocks: 12
; NumSGPRsForWavesPerEU: 30
; NumVGPRsForWavesPerEU: 102
; AccumOffset: 104
; Occupancy: 4
; WaveLimiterHint : 1
; COMPUTE_PGM_RSRC2:SCRATCH_EN: 0
; COMPUTE_PGM_RSRC2:USER_SGPR: 2
; COMPUTE_PGM_RSRC2:TRAP_HANDLER: 0
; COMPUTE_PGM_RSRC2:TGID_X_EN: 1
; COMPUTE_PGM_RSRC2:TGID_Y_EN: 0
; COMPUTE_PGM_RSRC2:TGID_Z_EN: 0
; COMPUTE_PGM_RSRC2:TIDIG_COMP_CNT: 0
; COMPUTE_PGM_RSRC3_GFX90A:ACCUM_OFFSET: 25
; COMPUTE_PGM_RSRC3_GFX90A:TG_SPLIT: 0
	.section	.text._ZL12rwkv_wkv_f32ILi128EEviiiiPKfS1_S1_S1_S1_S1_Pf,"axG",@progbits,_ZL12rwkv_wkv_f32ILi128EEviiiiPKfS1_S1_S1_S1_S1_Pf,comdat
	.globl	_ZL12rwkv_wkv_f32ILi128EEviiiiPKfS1_S1_S1_S1_S1_Pf ; -- Begin function _ZL12rwkv_wkv_f32ILi128EEviiiiPKfS1_S1_S1_S1_S1_Pf
	.p2align	8
	.type	_ZL12rwkv_wkv_f32ILi128EEviiiiPKfS1_S1_S1_S1_S1_Pf,@function
_ZL12rwkv_wkv_f32ILi128EEviiiiPKfS1_S1_S1_S1_S1_Pf: ; @_ZL12rwkv_wkv_f32ILi128EEviiiiPKfS1_S1_S1_S1_S1_Pf
; %bb.0:
	s_load_dwordx4 s[20:23], s[0:1], 0x0
	s_load_dwordx8 s[12:19], s[0:1], 0x10
	s_load_dwordx8 s[4:11], s[0:1], 0x30
	s_abs_i32 s1, s2
	s_waitcnt lgkmcnt(0)
	s_abs_i32 s3, s23
	v_cvt_f32_u32_e32 v1, s3
	s_sub_i32 s10, 0, s3
	s_xor_b32 s0, s2, s23
	v_mov_b32_e32 v2, s18
	v_rcp_iflag_f32_e32 v1, v1
	s_ashr_i32 s0, s0, 31
	v_mov_b32_e32 v3, s19
	v_mul_f32_e32 v1, 0x4f7ffffe, v1
	v_cvt_u32_f32_e32 v1, v1
	s_nop 0
	v_readfirstlane_b32 s11, v1
	s_mul_i32 s10, s10, s11
	s_mul_hi_u32 s10, s11, s10
	s_add_i32 s11, s11, s10
	s_mul_hi_u32 s10, s1, s11
	s_mul_i32 s11, s10, s3
	s_sub_i32 s1, s1, s11
	s_add_i32 s11, s10, 1
	s_sub_i32 s18, s1, s3
	s_cmp_ge_u32 s1, s3
	s_cselect_b32 s10, s11, s10
	s_cselect_b32 s1, s18, s1
	s_add_i32 s11, s10, 1
	s_cmp_ge_u32 s1, s3
	s_cselect_b32 s1, s11, s10
	s_xor_b32 s1, s1, s0
	s_sub_i32 s0, s1, s0
	s_mul_i32 s1, s0, s23
	s_sub_i32 s1, s2, s1
	s_mul_i32 s2, s22, s0
	s_lshl_b32 s2, s2, 7
	s_lshl_b32 s3, s1, 14
	s_add_i32 s3, s3, s2
	v_add_u32_e32 v6, s3, v0
	v_ashrrev_i32_e32 v7, 31, v6
	v_lshl_add_u64 v[4:5], v[6:7], 2, s[6:7]
	global_load_dword v10, v[4:5], off
	global_load_dword v11, v[4:5], off offset:512
	global_load_dword v8, v[4:5], off offset:1024
	;; [unrolled: 1-line block ×5, first 2 shown]
                                        ; kill: killed $vgpr4_vgpr5
	s_abs_i32 s3, s21
	s_xor_b32 s2, s21, s20
	s_ashr_i32 s2, s2, 31
	s_waitcnt vmcnt(0)
	scratch_store_dwordx2 off, v[12:13], off offset:8 ; 8-byte Folded Spill
	global_load_dword v12, v[4:5], off offset:3072
	s_nop 0
	global_load_dword v13, v[4:5], off offset:3584
	v_add_u32_e32 v4, 0x400, v6
	v_ashrrev_i32_e32 v5, 31, v4
	v_lshl_add_u64 v[4:5], v[4:5], 2, s[6:7]
	s_waitcnt vmcnt(0)
	scratch_store_dwordx2 off, v[12:13], off ; 8-byte Folded Spill
	global_load_dword v12, v[4:5], off
	v_add_u32_e32 v4, 0x480, v6
	v_ashrrev_i32_e32 v5, 31, v4
	v_lshl_add_u64 v[4:5], v[4:5], 2, s[6:7]
	global_load_dword v13, v[4:5], off
	v_add_u32_e32 v4, 0x500, v6
	v_ashrrev_i32_e32 v5, 31, v4
	v_lshl_add_u64 v[4:5], v[4:5], 2, s[6:7]
	s_waitcnt vmcnt(0)
	scratch_store_dwordx2 off, v[12:13], off offset:24 ; 8-byte Folded Spill
	global_load_dword v12, v[4:5], off
	v_add_u32_e32 v4, 0x580, v6
	v_ashrrev_i32_e32 v5, 31, v4
	v_lshl_add_u64 v[4:5], v[4:5], 2, s[6:7]
	global_load_dword v13, v[4:5], off
	v_add_u32_e32 v4, 0x600, v6
	v_ashrrev_i32_e32 v5, 31, v4
	v_lshl_add_u64 v[4:5], v[4:5], 2, s[6:7]
	global_load_dword v30, v[4:5], off
	v_add_u32_e32 v4, 0x680, v6
	v_ashrrev_i32_e32 v5, 31, v4
	v_lshl_add_u64 v[4:5], v[4:5], 2, s[6:7]
	global_load_dword v31, v[4:5], off
	v_add_u32_e32 v4, 0x700, v6
	v_ashrrev_i32_e32 v5, 31, v4
	v_lshl_add_u64 v[4:5], v[4:5], 2, s[6:7]
	global_load_dword v32, v[4:5], off
	v_add_u32_e32 v4, 0x780, v6
	v_ashrrev_i32_e32 v5, 31, v4
	v_lshl_add_u64 v[4:5], v[4:5], 2, s[6:7]
	global_load_dword v33, v[4:5], off
	v_add_u32_e32 v4, 0x800, v6
	v_ashrrev_i32_e32 v5, 31, v4
	v_lshl_add_u64 v[4:5], v[4:5], 2, s[6:7]
	global_load_dword v36, v[4:5], off
	v_add_u32_e32 v4, 0x880, v6
	v_ashrrev_i32_e32 v5, 31, v4
	v_lshl_add_u64 v[4:5], v[4:5], 2, s[6:7]
	global_load_dword v37, v[4:5], off
	v_add_u32_e32 v4, 0x900, v6
	v_ashrrev_i32_e32 v5, 31, v4
	v_lshl_add_u64 v[4:5], v[4:5], 2, s[6:7]
	global_load_dword v40, v[4:5], off
	v_add_u32_e32 v4, 0x980, v6
	v_ashrrev_i32_e32 v5, 31, v4
	v_lshl_add_u64 v[4:5], v[4:5], 2, s[6:7]
	global_load_dword v41, v[4:5], off
	v_add_u32_e32 v4, 0xa00, v6
	v_ashrrev_i32_e32 v5, 31, v4
	v_lshl_add_u64 v[4:5], v[4:5], 2, s[6:7]
	s_waitcnt vmcnt(8)
	scratch_store_dwordx2 off, v[12:13], off offset:32 ; 8-byte Folded Spill
	global_load_dword v12, v[4:5], off
	v_add_u32_e32 v4, 0xa80, v6
	v_ashrrev_i32_e32 v5, 31, v4
	v_lshl_add_u64 v[4:5], v[4:5], 2, s[6:7]
	global_load_dword v13, v[4:5], off
	v_add_u32_e32 v4, 0xb00, v6
	v_ashrrev_i32_e32 v5, 31, v4
	v_lshl_add_u64 v[4:5], v[4:5], 2, s[6:7]
	;; [unrolled: 4-line block ×82, first 2 shown]
	s_waitcnt vmcnt(62)
	scratch_store_dwordx2 off, v[12:13], off offset:16 ; 8-byte Folded Spill
	global_load_dword v12, v[4:5], off
	v_add_u32_e32 v4, 0x3380, v6
	v_ashrrev_i32_e32 v5, 31, v4
	v_lshl_add_u64 v[4:5], v[4:5], 2, s[6:7]
	global_load_dword v13, v[4:5], off
	v_add_u32_e32 v4, 0x3400, v6
	v_ashrrev_i32_e32 v5, 31, v4
	v_lshl_add_u64 v[4:5], v[4:5], 2, s[6:7]
	;; [unrolled: 4-line block ×20, first 2 shown]
	s_waitcnt vmcnt(18)
	scratch_store_dwordx2 off, v[12:13], off offset:40 ; 8-byte Folded Spill
	global_load_dword v12, v[4:5], off
	v_add_u32_e32 v4, 0x3d80, v6
	v_ashrrev_i32_e32 v5, 31, v4
	v_lshl_add_u64 v[4:5], v[4:5], 2, s[6:7]
	global_load_dword v13, v[4:5], off
	v_add_u32_e32 v4, 0x3e00, v6
	v_ashrrev_i32_e32 v5, 31, v4
	v_lshl_add_u64 v[4:5], v[4:5], 2, s[6:7]
	;; [unrolled: 4-line block ×5, first 2 shown]
	s_abs_i32 s6, s20
	v_cvt_f32_u32_e32 v1, s6
	global_load_dword v25, v[4:5], off
	v_lshl_add_u32 v4, s1, 7, v0
	v_ashrrev_i32_e32 v5, 31, v4
	v_rcp_iflag_f32_e32 v1, v1
	v_lshl_add_u64 v[2:3], v[4:5], 2, v[2:3]
	s_barrier
	v_mul_f32_e32 v1, 0x4f7ffffe, v1
	v_cvt_u32_f32_e32 v1, v1
	s_sub_i32 s7, 0, s6
	v_readfirstlane_b32 s10, v1
	global_load_dword v1, v[2:3], off
	s_mul_i32 s7, s7, s10
	s_mul_hi_u32 s7, s10, s7
	s_add_i32 s10, s10, s7
	s_mul_hi_u32 s7, s3, s10
	s_mul_i32 s10, s7, s6
	s_sub_i32 s3, s3, s10
	s_add_i32 s10, s7, 1
	s_sub_i32 s11, s3, s6
	s_cmp_ge_u32 s3, s6
	s_cselect_b32 s7, s10, s7
	s_cselect_b32 s3, s11, s3
	s_add_i32 s10, s7, 1
	s_cmp_ge_u32 s3, s6
	s_cselect_b32 s3, s10, s7
	s_xor_b32 s3, s3, s2
	s_sub_i32 s2, s3, s2
	s_mul_i32 s1, s2, s22
	s_mul_i32 s2, s1, s0
	s_add_i32 s0, s0, 1
	s_mul_i32 s1, s1, s0
	v_lshlrev_b32_e32 v2, 2, v0
	v_add_u32_e32 v20, s2, v4
	v_add_u32_e32 v0, s1, v4
	v_cmp_lt_i32_e32 vcc, v20, v0
	s_waitcnt vmcnt(0)
	ds_write_b32 v2, v1 offset:1536
	s_waitcnt lgkmcnt(0)
	s_barrier
	s_and_saveexec_b64 s[0:1], vcc
	s_cbranch_execz .LBB1_4
; %bb.1:
	v_ashrrev_i32_e32 v21, 31, v20
	s_ashr_i32 s23, s22, 31
	v_lshlrev_b64 v[4:5], 2, v[20:21]
	s_lshl_b64 s[6:7], s[22:23], 2
	s_mov_b64 s[2:3], 0
	v_mov_b32_e32 v21, 0
	v_mov_b64_e32 v[58:59], v[8:9]
	scratch_store_dwordx2 off, v[6:7], off offset:160 ; 8-byte Folded Spill
	scratch_store_dwordx2 off, v[10:11], off offset:64 ; 8-byte Folded Spill
	;; [unrolled: 1-line block ×4, first 2 shown]
	scratch_store_dword off, v2, off offset:152 ; 4-byte Folded Spill
	scratch_store_dword off, v0, off offset:156 ; 4-byte Folded Spill
.LBB1_2:                                ; =>This Inner Loop Header: Depth=1
	v_lshl_add_u64 v[0:1], s[12:13], 0, v[4:5]
	scratch_store_dwordx2 off, v[4:5], off offset:136 ; 8-byte Folded Spill
	scratch_store_dwordx2 off, v[24:25], off offset:128 ; 8-byte Folded Spill
	;; [unrolled: 1-line block ×9, first 2 shown]
	s_barrier
	global_load_dword v0, v[0:1], off
	v_mov_b64_e32 v[44:45], v[72:73]
	v_mov_b64_e32 v[72:73], v[62:63]
	;; [unrolled: 1-line block ×13, first 2 shown]
	v_add_u32_e32 v20, s22, v20
	s_waitcnt vmcnt(0)
	ds_write_b32 v2, v0
	v_lshl_add_u64 v[0:1], s[16:17], 0, v[4:5]
	global_load_dword v0, v[0:1], off
	v_add_u32_e32 v1, 0x200, v2
	s_waitcnt vmcnt(0)
	ds_write_b32 v1, v0
	v_lshl_add_u64 v[0:1], s[4:5], 0, v[4:5]
	global_load_dword v0, v[0:1], off
	v_add_u32_e32 v1, 0x400, v2
	v_mov_b64_e32 v[2:3], v[40:41]
	s_waitcnt vmcnt(0)
	ds_write_b32 v1, v0
	v_lshl_add_u64 v[0:1], s[14:15], 0, v[4:5]
	s_waitcnt lgkmcnt(0)
	s_barrier
	global_load_dword v24, v[0:1], off
	ds_read_b128 v[12:15], v21 offset:512
	ds_read_b128 v[30:33], v21 offset:1536
	ds_read_b128 v[34:37], v21
	ds_read_b128 v[8:11], v21 offset:16
	ds_read_b128 v[4:7], v21 offset:32
	;; [unrolled: 1-line block ×3, first 2 shown]
	scratch_load_dwordx2 v[0:1], off, off offset:64 ; 8-byte Folded Reload
	ds_read_b128 v[38:41], v21 offset:1024
	s_waitcnt vmcnt(1) lgkmcnt(4)
	v_pk_mul_f32 v[34:35], v[24:25], v[34:35] op_sel_hi:[0,1]
	s_waitcnt vmcnt(0)
	v_mov_b32_e32 v25, v0
	v_fmac_f32_e32 v25, v34, v30
	v_fma_f32 v25, v12, v25, 0
	v_mov_b32_e32 v12, v1
	v_fmac_f32_e32 v12, v35, v31
	v_fmac_f32_e32 v25, v13, v12
	v_pk_mul_f32 v[12:13], v[24:25], v[36:37] op_sel_hi:[0,1]
	v_mov_b32_e32 v30, v58
	v_fmac_f32_e32 v30, v12, v32
	s_waitcnt lgkmcnt(0)
	v_pk_fma_f32 v[0:1], v[0:1], v[38:39], v[34:35]
	v_fmac_f32_e32 v25, v14, v30
	v_mov_b32_e32 v14, v59
	v_pk_fma_f32 v[58:59], v[58:59], v[40:41], v[12:13]
	scratch_store_dwordx2 off, v[0:1], off offset:64 ; 8-byte Folded Spill
	scratch_store_dwordx2 off, v[58:59], off offset:144 ; 8-byte Folded Spill
	scratch_load_dwordx2 v[38:39], off, off ; 8-byte Folded Reload
	scratch_load_dwordx2 v[40:41], off, off offset:8 ; 8-byte Folded Reload
	s_nop 0
	scratch_load_dwordx2 v[58:59], off, off offset:16 ; 8-byte Folded Reload
	v_fmac_f32_e32 v14, v13, v33
	v_fmac_f32_e32 v25, v15, v14
	ds_read_b128 v[12:15], v21 offset:528
	ds_read_b128 v[30:33], v21 offset:1552
	v_pk_mul_f32 v[8:9], v[24:25], v[8:9] op_sel_hi:[0,1]
	s_waitcnt vmcnt(1)
	v_mov_b32_e32 v34, v40
	s_waitcnt lgkmcnt(0)
	v_fmac_f32_e32 v34, v8, v30
	v_fmac_f32_e32 v25, v12, v34
	ds_read_b128 v[34:37], v21 offset:1040
	v_mov_b32_e32 v12, v41
	v_fmac_f32_e32 v12, v9, v31
	v_fmac_f32_e32 v25, v13, v12
	s_waitcnt lgkmcnt(0)
	v_pk_fma_f32 v[40:41], v[40:41], v[34:35], v[8:9]
	scratch_store_dwordx2 off, v[40:41], off offset:8 ; 8-byte Folded Spill
	scratch_load_dwordx2 v[0:1], off, off offset:24 ; 8-byte Folded Reload
	scratch_load_dwordx2 v[34:35], off, off offset:32 ; 8-byte Folded Reload
	v_pk_mul_f32 v[8:9], v[24:25], v[10:11] op_sel_hi:[0,1]
	v_mov_b32_e32 v10, v38
	v_fmac_f32_e32 v10, v8, v32
	v_fmac_f32_e32 v25, v14, v10
	v_mov_b32_e32 v10, v39
	v_pk_fma_f32 v[38:39], v[38:39], v[36:37], v[8:9]
	v_fmac_f32_e32 v10, v9, v33
	scratch_store_dwordx2 off, v[38:39], off ; 8-byte Folded Spill
	v_fmac_f32_e32 v25, v15, v10
	ds_read_b128 v[8:11], v21 offset:544
	ds_read_b128 v[12:15], v21 offset:1568
	v_pk_mul_f32 v[4:5], v[24:25], v[4:5] op_sel_hi:[0,1]
	v_mov_b64_e32 v[36:37], v[50:51]
	v_mov_b64_e32 v[50:51], v[60:61]
	;; [unrolled: 1-line block ×11, first 2 shown]
	s_waitcnt vmcnt(2)
	v_mov_b32_e32 v30, v0
	s_waitcnt lgkmcnt(0)
	v_fmac_f32_e32 v30, v4, v12
	v_fmac_f32_e32 v25, v8, v30
	ds_read_b128 v[30:33], v21 offset:1056
	v_mov_b32_e32 v8, v1
	v_fmac_f32_e32 v8, v5, v13
	v_fmac_f32_e32 v25, v9, v8
	s_waitcnt lgkmcnt(0)
	v_pk_fma_f32 v[0:1], v[0:1], v[30:31], v[4:5]
	v_pk_mul_f32 v[4:5], v[24:25], v[6:7] op_sel_hi:[0,1]
	s_waitcnt vmcnt(1)
	v_mov_b32_e32 v6, v34
	v_fmac_f32_e32 v6, v4, v14
	v_fmac_f32_e32 v25, v10, v6
	v_mov_b32_e32 v6, v35
	v_pk_fma_f32 v[34:35], v[34:35], v[32:33], v[4:5]
	scratch_store_dwordx2 off, v[0:1], off offset:24 ; 8-byte Folded Spill
	scratch_store_dwordx2 off, v[34:35], off offset:32 ; 8-byte Folded Spill
	v_mov_b64_e32 v[30:31], v[52:53]
	scratch_load_dwordx2 v[32:33], off, off offset:96 ; 8-byte Folded Reload
	scratch_load_dwordx2 v[52:53], off, off offset:72 ; 8-byte Folded Reload
	;; [unrolled: 1-line block ×3, first 2 shown]
	v_fmac_f32_e32 v6, v5, v15
	v_fmac_f32_e32 v25, v11, v6
	v_mov_b64_e32 v[34:35], v[26:27]
	v_mov_b64_e32 v[26:27], v[42:43]
	scratch_load_dwordx2 v[42:43], off, off offset:120 ; 8-byte Folded Reload
	scratch_load_dwordx2 v[38:39], off, off offset:104 ; 8-byte Folded Reload
	ds_read_b128 v[4:7], v21 offset:560
	ds_read_b128 v[8:11], v21 offset:1584
	v_pk_mul_f32 v[0:1], v[24:25], v[120:121] op_sel_hi:[0,1]
	v_mov_b32_e32 v12, v30
	scratch_load_dwordx2 v[120:121], off, off offset:80 ; 8-byte Folded Reload
	s_waitcnt lgkmcnt(0)
	v_fmac_f32_e32 v12, v0, v8
	v_fmac_f32_e32 v25, v4, v12
	ds_read_b128 v[12:15], v21 offset:1072
	v_mov_b32_e32 v4, v31
	v_fmac_f32_e32 v4, v1, v9
	v_fmac_f32_e32 v25, v5, v4
	s_waitcnt lgkmcnt(0)
	v_pk_fma_f32 v[30:31], v[30:31], v[12:13], v[0:1]
	v_pk_mul_f32 v[0:1], v[24:25], v[122:123] op_sel_hi:[0,1]
	scratch_load_dwordx2 v[122:123], off, off offset:88 ; 8-byte Folded Reload
	v_mov_b32_e32 v12, v36
	s_waitcnt vmcnt(6)
	v_mov_b32_e32 v2, v32
	v_fmac_f32_e32 v2, v0, v10
	v_fmac_f32_e32 v25, v6, v2
	v_mov_b32_e32 v2, v33
	v_fmac_f32_e32 v2, v1, v11
	v_fmac_f32_e32 v25, v7, v2
	v_pk_fma_f32 v[32:33], v[32:33], v[14:15], v[0:1]
	ds_read_b128 v[0:3], v21 offset:576
	ds_read_b128 v[4:7], v21 offset:1600
	;; [unrolled: 1-line block ×3, first 2 shown]
	s_waitcnt lgkmcnt(0)
	v_pk_mul_f32 v[8:9], v[24:25], v[8:9] op_sel_hi:[0,1]
	v_fmac_f32_e32 v12, v8, v4
	v_fmac_f32_e32 v25, v0, v12
	v_mov_b32_e32 v0, v37
	v_fmac_f32_e32 v0, v9, v5
	v_fmac_f32_e32 v25, v1, v0
	ds_read_b128 v[12:15], v21 offset:1088
	v_pk_mul_f32 v[0:1], v[24:25], v[10:11] op_sel_hi:[0,1]
	v_mov_b32_e32 v4, v40
	v_fmac_f32_e32 v4, v0, v6
	v_fmac_f32_e32 v25, v2, v4
	v_mov_b32_e32 v2, v41
	v_fmac_f32_e32 v2, v1, v7
	s_waitcnt lgkmcnt(0)
	v_pk_fma_f32 v[36:37], v[36:37], v[12:13], v[8:9]
	v_fmac_f32_e32 v25, v3, v2
	v_pk_fma_f32 v[40:41], v[40:41], v[14:15], v[0:1]
	ds_read_b128 v[0:3], v21 offset:592
	ds_read_b128 v[4:7], v21 offset:1616
	;; [unrolled: 1-line block ×3, first 2 shown]
	v_mov_b32_e32 v12, v58
	s_waitcnt lgkmcnt(0)
	v_pk_mul_f32 v[8:9], v[24:25], v[8:9] op_sel_hi:[0,1]
	v_fmac_f32_e32 v12, v8, v4
	v_fmac_f32_e32 v25, v0, v12
	v_mov_b32_e32 v0, v59
	ds_read_b128 v[12:15], v21 offset:1104
	v_fmac_f32_e32 v0, v9, v5
	v_fmac_f32_e32 v25, v1, v0
	v_pk_mul_f32 v[0:1], v[24:25], v[10:11] op_sel_hi:[0,1]
	v_mov_b32_e32 v4, v50
	v_fmac_f32_e32 v4, v0, v6
	s_waitcnt lgkmcnt(0)
	v_pk_fma_f32 v[58:59], v[58:59], v[12:13], v[8:9]
	v_fmac_f32_e32 v25, v2, v4
	v_mov_b32_e32 v2, v51
	scratch_store_dwordx2 off, v[58:59], off offset:16 ; 8-byte Folded Spill
	v_fmac_f32_e32 v2, v1, v7
	v_fmac_f32_e32 v25, v3, v2
	v_pk_fma_f32 v[50:51], v[50:51], v[14:15], v[0:1]
	ds_read_b128 v[0:3], v21 offset:608
	ds_read_b128 v[4:7], v21 offset:1632
	;; [unrolled: 1-line block ×3, first 2 shown]
	s_waitcnt vmcnt(6)
	v_mov_b32_e32 v12, v52
	s_waitcnt lgkmcnt(0)
	v_pk_mul_f32 v[8:9], v[24:25], v[8:9] op_sel_hi:[0,1]
	v_fmac_f32_e32 v12, v8, v4
	v_fmac_f32_e32 v25, v0, v12
	v_mov_b32_e32 v0, v53
	v_fmac_f32_e32 v0, v9, v5
	v_fmac_f32_e32 v25, v1, v0
	ds_read_b128 v[12:15], v21 offset:1120
	v_pk_mul_f32 v[0:1], v[24:25], v[10:11] op_sel_hi:[0,1]
	v_mov_b32_e32 v4, v54
	v_fmac_f32_e32 v4, v0, v6
	v_fmac_f32_e32 v25, v2, v4
	v_mov_b32_e32 v2, v55
	v_fmac_f32_e32 v2, v1, v7
	s_waitcnt lgkmcnt(0)
	v_pk_fma_f32 v[52:53], v[52:53], v[12:13], v[8:9]
	v_fmac_f32_e32 v25, v3, v2
	v_pk_fma_f32 v[54:55], v[54:55], v[14:15], v[0:1]
	ds_read_b128 v[0:3], v21 offset:624
	ds_read_b128 v[4:7], v21 offset:1648
	;; [unrolled: 1-line block ×3, first 2 shown]
	v_mov_b32_e32 v12, v56
	s_waitcnt lgkmcnt(0)
	v_pk_mul_f32 v[8:9], v[24:25], v[8:9] op_sel_hi:[0,1]
	v_fmac_f32_e32 v12, v8, v4
	v_fmac_f32_e32 v25, v0, v12
	v_mov_b32_e32 v0, v57
	v_fmac_f32_e32 v0, v9, v5
	v_fmac_f32_e32 v25, v1, v0
	ds_read_b128 v[12:15], v21 offset:1136
	v_pk_mul_f32 v[0:1], v[24:25], v[10:11] op_sel_hi:[0,1]
	v_mov_b32_e32 v4, v68
	v_fmac_f32_e32 v4, v0, v6
	v_fmac_f32_e32 v25, v2, v4
	v_mov_b32_e32 v2, v69
	v_fmac_f32_e32 v2, v1, v7
	s_waitcnt lgkmcnt(0)
	v_pk_fma_f32 v[56:57], v[56:57], v[12:13], v[8:9]
	v_fmac_f32_e32 v25, v3, v2
	v_pk_fma_f32 v[68:69], v[68:69], v[14:15], v[0:1]
	ds_read_b128 v[0:3], v21 offset:640
	ds_read_b128 v[4:7], v21 offset:1664
	;; [unrolled: 1-line block ×3, first 2 shown]
	v_mov_b32_e32 v12, v60
	s_waitcnt lgkmcnt(0)
	v_pk_mul_f32 v[8:9], v[24:25], v[8:9] op_sel_hi:[0,1]
	v_fmac_f32_e32 v12, v8, v4
	v_fmac_f32_e32 v25, v0, v12
	v_mov_b32_e32 v0, v61
	v_fmac_f32_e32 v0, v9, v5
	v_fmac_f32_e32 v25, v1, v0
	ds_read_b128 v[12:15], v21 offset:1152
	v_pk_mul_f32 v[0:1], v[24:25], v[10:11] op_sel_hi:[0,1]
	s_waitcnt vmcnt(3)
	v_mov_b32_e32 v4, v38
	v_fmac_f32_e32 v4, v0, v6
	v_fmac_f32_e32 v25, v2, v4
	v_mov_b32_e32 v2, v39
	v_fmac_f32_e32 v2, v1, v7
	s_waitcnt lgkmcnt(0)
	v_pk_fma_f32 v[60:61], v[60:61], v[12:13], v[8:9]
	v_fmac_f32_e32 v25, v3, v2
	v_pk_fma_f32 v[38:39], v[38:39], v[14:15], v[0:1]
	ds_read_b128 v[0:3], v21 offset:656
	ds_read_b128 v[4:7], v21 offset:1680
	ds_read_b128 v[8:11], v21 offset:144
	v_mov_b32_e32 v12, v64
	s_waitcnt lgkmcnt(0)
	v_pk_mul_f32 v[8:9], v[24:25], v[8:9] op_sel_hi:[0,1]
	v_fmac_f32_e32 v12, v8, v4
	v_fmac_f32_e32 v25, v0, v12
	v_mov_b32_e32 v0, v65
	v_fmac_f32_e32 v0, v9, v5
	v_fmac_f32_e32 v25, v1, v0
	ds_read_b128 v[12:15], v21 offset:1168
	v_pk_mul_f32 v[0:1], v[24:25], v[10:11] op_sel_hi:[0,1]
	v_mov_b32_e32 v4, v66
	v_fmac_f32_e32 v4, v0, v6
	v_fmac_f32_e32 v25, v2, v4
	v_mov_b32_e32 v2, v67
	v_fmac_f32_e32 v2, v1, v7
	s_waitcnt lgkmcnt(0)
	v_pk_fma_f32 v[64:65], v[64:65], v[12:13], v[8:9]
	v_fmac_f32_e32 v25, v3, v2
	v_pk_fma_f32 v[66:67], v[66:67], v[14:15], v[0:1]
	ds_read_b128 v[0:3], v21 offset:672
	ds_read_b128 v[4:7], v21 offset:1696
	ds_read_b128 v[8:11], v21 offset:160
	v_mov_b32_e32 v12, v78
	s_waitcnt lgkmcnt(0)
	v_pk_mul_f32 v[8:9], v[24:25], v[8:9] op_sel_hi:[0,1]
	v_fmac_f32_e32 v12, v8, v4
	v_fmac_f32_e32 v25, v0, v12
	v_mov_b32_e32 v0, v79
	v_fmac_f32_e32 v0, v9, v5
	v_fmac_f32_e32 v25, v1, v0
	ds_read_b128 v[12:15], v21 offset:1184
	v_pk_mul_f32 v[0:1], v[24:25], v[10:11] op_sel_hi:[0,1]
	;; [unrolled: 22-line block ×16, first 2 shown]
	v_mov_b32_e32 v4, v46
	v_fmac_f32_e32 v4, v0, v6
	v_fmac_f32_e32 v25, v2, v4
	v_mov_b32_e32 v2, v47
	v_fmac_f32_e32 v2, v1, v7
	s_waitcnt lgkmcnt(0)
	v_pk_fma_f32 v[22:23], v[22:23], v[12:13], v[8:9]
	v_fmac_f32_e32 v25, v3, v2
	v_pk_fma_f32 v[46:47], v[46:47], v[14:15], v[0:1]
	ds_read_b128 v[0:3], v21 offset:912
	ds_read_b128 v[4:7], v21 offset:1936
	;; [unrolled: 1-line block ×3, first 2 shown]
	v_mov_b32_e32 v12, v48
	s_waitcnt lgkmcnt(0)
	v_pk_mul_f32 v[8:9], v[24:25], v[8:9] op_sel_hi:[0,1]
	v_fmac_f32_e32 v12, v8, v4
	v_fmac_f32_e32 v25, v0, v12
	ds_read_b128 v[12:15], v21 offset:1424
	v_mov_b32_e32 v0, v49
	v_fmac_f32_e32 v0, v9, v5
	v_fmac_f32_e32 v25, v1, v0
	v_pk_mul_f32 v[0:1], v[24:25], v[10:11] op_sel_hi:[0,1]
	s_waitcnt lgkmcnt(0)
	v_pk_fma_f32 v[48:49], v[48:49], v[12:13], v[8:9]
	scratch_load_dwordx2 v[8:9], off, off offset:40 ; 8-byte Folded Reload
	s_waitcnt vmcnt(3)
	v_mov_b32_e32 v12, v120
	s_waitcnt vmcnt(0)
	v_mov_b32_e32 v4, v8
	v_fmac_f32_e32 v4, v0, v6
	v_fmac_f32_e32 v25, v2, v4
	v_mov_b64_e32 v[4:5], v[8:9]
	v_mov_b32_e32 v2, v9
	v_pk_fma_f32 v[4:5], v[4:5], v[14:15], v[0:1]
	v_fmac_f32_e32 v2, v1, v7
	scratch_store_dwordx2 off, v[4:5], off offset:40 ; 8-byte Folded Spill
	v_fmac_f32_e32 v25, v3, v2
	ds_read_b128 v[0:3], v21 offset:928
	ds_read_b128 v[4:7], v21 offset:1952
	ds_read_b128 v[8:11], v21 offset:416
	s_waitcnt lgkmcnt(0)
	v_pk_mul_f32 v[8:9], v[24:25], v[8:9] op_sel_hi:[0,1]
	v_fmac_f32_e32 v12, v8, v4
	v_fmac_f32_e32 v25, v0, v12
	v_mov_b32_e32 v0, v121
	v_fmac_f32_e32 v0, v9, v5
	v_fmac_f32_e32 v25, v1, v0
	ds_read_b128 v[12:15], v21 offset:1440
	v_pk_mul_f32 v[0:1], v[24:25], v[10:11] op_sel_hi:[0,1]
	v_mov_b32_e32 v4, v122
	v_fmac_f32_e32 v4, v0, v6
	v_fmac_f32_e32 v25, v2, v4
	v_mov_b32_e32 v2, v123
	v_fmac_f32_e32 v2, v1, v7
	s_waitcnt lgkmcnt(0)
	v_pk_fma_f32 v[120:121], v[120:121], v[12:13], v[8:9]
	v_fmac_f32_e32 v25, v3, v2
	v_pk_fma_f32 v[122:123], v[122:123], v[14:15], v[0:1]
	ds_read_b128 v[0:3], v21 offset:944
	ds_read_b128 v[4:7], v21 offset:1968
	;; [unrolled: 1-line block ×3, first 2 shown]
	v_mov_b32_e32 v12, v124
	s_waitcnt lgkmcnt(0)
	v_pk_mul_f32 v[8:9], v[24:25], v[8:9] op_sel_hi:[0,1]
	v_fmac_f32_e32 v12, v8, v4
	v_fmac_f32_e32 v25, v0, v12
	v_mov_b32_e32 v0, v125
	v_fmac_f32_e32 v0, v9, v5
	v_fmac_f32_e32 v25, v1, v0
	ds_read_b128 v[12:15], v21 offset:1456
	v_pk_mul_f32 v[0:1], v[24:25], v[10:11] op_sel_hi:[0,1]
	v_mov_b32_e32 v4, v126
	v_fmac_f32_e32 v4, v0, v6
	v_fmac_f32_e32 v25, v2, v4
	v_mov_b32_e32 v2, v127
	v_fmac_f32_e32 v2, v1, v7
	s_waitcnt lgkmcnt(0)
	v_pk_fma_f32 v[124:125], v[124:125], v[12:13], v[8:9]
	v_fmac_f32_e32 v25, v3, v2
	v_pk_fma_f32 v[126:127], v[126:127], v[14:15], v[0:1]
	ds_read_b128 v[0:3], v21 offset:960
	ds_read_b128 v[4:7], v21 offset:1984
	ds_read_b128 v[8:11], v21 offset:448
	v_mov_b32_e32 v12, v62
	s_waitcnt lgkmcnt(0)
	v_pk_mul_f32 v[8:9], v[24:25], v[8:9] op_sel_hi:[0,1]
	v_fmac_f32_e32 v12, v8, v4
	v_fmac_f32_e32 v25, v0, v12
	v_mov_b32_e32 v0, v63
	v_fmac_f32_e32 v0, v9, v5
	v_fmac_f32_e32 v25, v1, v0
	ds_read_b128 v[12:15], v21 offset:1472
	v_pk_mul_f32 v[0:1], v[24:25], v[10:11] op_sel_hi:[0,1]
	v_mov_b32_e32 v4, v34
	v_fmac_f32_e32 v4, v0, v6
	v_fmac_f32_e32 v25, v2, v4
	v_mov_b32_e32 v2, v35
	v_fmac_f32_e32 v2, v1, v7
	v_fmac_f32_e32 v25, v3, v2
	s_waitcnt lgkmcnt(0)
	v_pk_fma_f32 v[34:35], v[34:35], v[14:15], v[0:1]
	ds_read_b128 v[0:3], v21 offset:464
	v_pk_fma_f32 v[62:63], v[62:63], v[12:13], v[8:9]
	ds_read_b128 v[4:7], v21 offset:976
	ds_read_b128 v[8:11], v21 offset:2000
	;; [unrolled: 1-line block ×3, first 2 shown]
	s_waitcnt lgkmcnt(3)
	v_pk_mul_f32 v[0:1], v[24:25], v[0:1] op_sel_hi:[0,1]
	s_waitcnt lgkmcnt(1)
	v_pk_fma_f32 v[8:9], v[0:1], v[8:9], v[72:73]
	s_nop 0
	v_pk_mul_f32 v[4:5], v[4:5], v[8:9]
	s_waitcnt lgkmcnt(0)
	v_pk_fma_f32 v[72:73], v[72:73], v[12:13], v[0:1]
	v_pk_mul_f32 v[0:1], v[24:25], v[2:3] op_sel_hi:[0,1]
	v_add_f32_e32 v4, v25, v4
	v_pk_fma_f32 v[2:3], v[0:1], v[10:11], v[26:27]
	v_add_f32_e32 v4, v4, v5
	v_pk_mul_f32 v[2:3], v[6:7], v[2:3]
	v_pk_fma_f32 v[26:27], v[26:27], v[14:15], v[0:1]
	v_add_f32_e32 v2, v4, v2
	v_add_f32_e32 v12, v2, v3
	ds_read_b128 v[0:3], v21 offset:480
	ds_read_b128 v[4:7], v21 offset:992
	;; [unrolled: 1-line block ×3, first 2 shown]
	s_waitcnt lgkmcnt(2)
	v_pk_mul_f32 v[0:1], v[24:25], v[0:1] op_sel_hi:[0,1]
	s_waitcnt lgkmcnt(0)
	v_pk_fma_f32 v[8:9], v[0:1], v[8:9], v[42:43]
	s_nop 0
	v_pk_mul_f32 v[4:5], v[4:5], v[8:9]
	scratch_load_dwordx2 v[8:9], off, off offset:56 ; 8-byte Folded Reload
	v_add_f32_e32 v4, v12, v4
	ds_read_b128 v[12:15], v21 offset:1504
	v_add_f32_e32 v4, v4, v5
	s_waitcnt lgkmcnt(0)
	v_pk_fma_f32 v[42:43], v[42:43], v[12:13], v[0:1]
	v_pk_mul_f32 v[0:1], v[24:25], v[2:3] op_sel_hi:[0,1]
	s_waitcnt vmcnt(0)
	v_pk_fma_f32 v[2:3], v[0:1], v[10:11], v[8:9]
	s_nop 0
	v_pk_mul_f32 v[2:3], v[6:7], v[2:3]
	v_pk_fma_f32 v[8:9], v[8:9], v[14:15], v[0:1]
	v_add_f32_e32 v2, v4, v2
	scratch_store_dwordx2 off, v[8:9], off offset:56 ; 8-byte Folded Spill
	v_add_f32_e32 v12, v2, v3
	ds_read_b128 v[0:3], v21 offset:496
	ds_read_b128 v[4:7], v21 offset:1008
	;; [unrolled: 1-line block ×3, first 2 shown]
	scratch_load_dwordx2 v[58:59], off, off offset:48 ; 8-byte Folded Reload
	s_waitcnt lgkmcnt(2)
	v_pk_mul_f32 v[0:1], v[24:25], v[0:1] op_sel_hi:[0,1]
	v_pk_mul_f32 v[2:3], v[24:25], v[2:3] op_sel_hi:[0,1]
	scratch_load_dwordx2 v[24:25], off, off offset:128 ; 8-byte Folded Reload
	s_waitcnt vmcnt(1) lgkmcnt(0)
	v_pk_fma_f32 v[8:9], v[0:1], v[8:9], v[58:59]
	s_nop 0
	v_pk_mul_f32 v[4:5], v[4:5], v[8:9]
	s_nop 0
	v_add_f32_e32 v4, v12, v4
	ds_read_b128 v[12:15], v21 offset:1520
	v_add_f32_e32 v4, v4, v5
	s_waitcnt lgkmcnt(0)
	v_pk_fma_f32 v[58:59], v[58:59], v[12:13], v[0:1]
	s_waitcnt vmcnt(0)
	v_pk_fma_f32 v[0:1], v[2:3], v[10:11], v[24:25]
	scratch_store_dwordx2 off, v[58:59], off offset:48 ; 8-byte Folded Spill
	v_pk_mul_f32 v[0:1], v[6:7], v[0:1]
	scratch_load_dwordx2 v[58:59], off, off offset:144 ; 8-byte Folded Reload
	v_add_f32_e32 v0, v4, v0
	scratch_load_dwordx2 v[4:5], off, off offset:136 ; 8-byte Folded Reload
	v_add_f32_e32 v0, v0, v1
	v_pk_fma_f32 v[24:25], v[24:25], v[14:15], v[2:3]
	s_waitcnt vmcnt(0)
	v_lshl_add_u64 v[2:3], s[8:9], 0, v[4:5]
	global_store_dword v[2:3], v0, off
	scratch_load_dword v0, off, off offset:156 ; 4-byte Folded Reload
	s_nop 0
	scratch_load_dword v2, off, off offset:152 ; 4-byte Folded Reload
	v_lshl_add_u64 v[4:5], v[4:5], 0, s[6:7]
	s_waitcnt vmcnt(1)
	v_cmp_ge_i32_e32 vcc, v20, v0
	s_or_b64 s[2:3], vcc, s[2:3]
	s_andn2_b64 exec, exec, s[2:3]
	s_cbranch_execnz .LBB1_2
; %bb.3:
	s_or_b64 exec, exec, s[2:3]
	scratch_load_dwordx2 v[10:11], off, off offset:64 ; 8-byte Folded Reload
	scratch_load_dwordx2 v[6:7], off, off offset:160 ; 8-byte Folded Reload
	;; [unrolled: 1-line block ×4, first 2 shown]
	v_mov_b64_e32 v[8:9], v[58:59]
.LBB1_4:
	s_or_b64 exec, exec, s[0:1]
	s_mul_i32 s0, s22, s21
	s_waitcnt vmcnt(2)
	v_add_u32_e32 v0, s0, v6
	v_ashrrev_i32_e32 v1, 31, v0
	v_lshl_add_u64 v[2:3], v[0:1], 2, s[8:9]
	global_store_dword v[2:3], v10, off
	global_store_dword v[2:3], v11, off offset:512
	global_store_dword v[2:3], v8, off offset:1024
	global_store_dword v[2:3], v9, off offset:1536
	scratch_load_dwordx2 v[4:5], off, off offset:8 ; 8-byte Folded Reload
	s_waitcnt vmcnt(0)
	global_store_dword v[2:3], v4, off offset:2048
	global_store_dword v[2:3], v5, off offset:2560
	scratch_load_dwordx2 v[4:5], off, off   ; 8-byte Folded Reload
	s_waitcnt vmcnt(0)
	global_store_dword v[2:3], v4, off offset:3072
	global_store_dword v[2:3], v5, off offset:3584
	scratch_load_dwordx2 v[4:5], off, off offset:24 ; 8-byte Folded Reload
	v_add_u32_e32 v2, 0x400, v0
	v_ashrrev_i32_e32 v3, 31, v2
	v_lshl_add_u64 v[2:3], v[2:3], 2, s[8:9]
	scratch_load_dwordx2 v[58:59], off, off offset:40 ; 8-byte Folded Reload
	s_waitcnt vmcnt(1)
	global_store_dword v[2:3], v4, off
	v_add_u32_e32 v2, 0x480, v0
	v_ashrrev_i32_e32 v3, 31, v2
	v_lshl_add_u64 v[2:3], v[2:3], 2, s[8:9]
	global_store_dword v[2:3], v5, off
	scratch_load_dwordx2 v[4:5], off, off offset:32 ; 8-byte Folded Reload
	v_add_u32_e32 v2, 0x500, v0
	v_ashrrev_i32_e32 v3, 31, v2
	v_lshl_add_u64 v[2:3], v[2:3], 2, s[8:9]
	s_waitcnt vmcnt(0)
	global_store_dword v[2:3], v4, off
	v_add_u32_e32 v2, 0x580, v0
	v_ashrrev_i32_e32 v3, 31, v2
	v_lshl_add_u64 v[2:3], v[2:3], 2, s[8:9]
	global_store_dword v[2:3], v5, off
	scratch_load_dwordx2 v[4:5], off, off offset:16 ; 8-byte Folded Reload
	v_add_u32_e32 v2, 0x600, v0
	v_ashrrev_i32_e32 v3, 31, v2
	v_lshl_add_u64 v[2:3], v[2:3], 2, s[8:9]
	global_store_dword v[2:3], v30, off
	v_add_u32_e32 v2, 0x680, v0
	v_ashrrev_i32_e32 v3, 31, v2
	v_lshl_add_u64 v[2:3], v[2:3], 2, s[8:9]
	global_store_dword v[2:3], v31, off
	;; [unrolled: 4-line block ×8, first 2 shown]
	v_add_u32_e32 v2, 0xa00, v0
	v_ashrrev_i32_e32 v3, 31, v2
	v_lshl_add_u64 v[2:3], v[2:3], 2, s[8:9]
	s_waitcnt vmcnt(8)
	global_store_dword v[2:3], v4, off
	v_add_u32_e32 v2, 0xa80, v0
	v_ashrrev_i32_e32 v3, 31, v2
	v_lshl_add_u64 v[2:3], v[2:3], 2, s[8:9]
	global_store_dword v[2:3], v5, off
	v_add_u32_e32 v2, 0xb00, v0
	v_ashrrev_i32_e32 v3, 31, v2
	v_lshl_add_u64 v[2:3], v[2:3], 2, s[8:9]
	;; [unrolled: 4-line block ×105, first 2 shown]
	global_store_dword v[2:3], v15, off
	v_add_u32_e32 v2, 0x3f00, v0
	v_add_u32_e32 v0, 0x3f80, v0
	v_ashrrev_i32_e32 v3, 31, v2
	v_ashrrev_i32_e32 v1, 31, v0
	v_lshl_add_u64 v[2:3], v[2:3], 2, s[8:9]
	v_lshl_add_u64 v[0:1], v[0:1], 2, s[8:9]
	global_store_dword v[2:3], v24, off
	global_store_dword v[0:1], v25, off
	s_endpgm
	.section	.rodata,"a",@progbits
	.p2align	6, 0x0
	.amdhsa_kernel _ZL12rwkv_wkv_f32ILi128EEviiiiPKfS1_S1_S1_S1_S1_Pf
		.amdhsa_group_segment_fixed_size 2048
		.amdhsa_private_segment_fixed_size 172
		.amdhsa_kernarg_size 72
		.amdhsa_user_sgpr_count 2
		.amdhsa_user_sgpr_dispatch_ptr 0
		.amdhsa_user_sgpr_queue_ptr 0
		.amdhsa_user_sgpr_kernarg_segment_ptr 1
		.amdhsa_user_sgpr_dispatch_id 0
		.amdhsa_user_sgpr_kernarg_preload_length 0
		.amdhsa_user_sgpr_kernarg_preload_offset 0
		.amdhsa_user_sgpr_private_segment_size 0
		.amdhsa_uses_dynamic_stack 0
		.amdhsa_enable_private_segment 1
		.amdhsa_system_sgpr_workgroup_id_x 1
		.amdhsa_system_sgpr_workgroup_id_y 0
		.amdhsa_system_sgpr_workgroup_id_z 0
		.amdhsa_system_sgpr_workgroup_info 0
		.amdhsa_system_vgpr_workitem_id 0
		.amdhsa_next_free_vgpr 128
		.amdhsa_next_free_sgpr 24
		.amdhsa_accum_offset 128
		.amdhsa_reserve_vcc 1
		.amdhsa_float_round_mode_32 0
		.amdhsa_float_round_mode_16_64 0
		.amdhsa_float_denorm_mode_32 3
		.amdhsa_float_denorm_mode_16_64 3
		.amdhsa_dx10_clamp 1
		.amdhsa_ieee_mode 1
		.amdhsa_fp16_overflow 0
		.amdhsa_tg_split 0
		.amdhsa_exception_fp_ieee_invalid_op 0
		.amdhsa_exception_fp_denorm_src 0
		.amdhsa_exception_fp_ieee_div_zero 0
		.amdhsa_exception_fp_ieee_overflow 0
		.amdhsa_exception_fp_ieee_underflow 0
		.amdhsa_exception_fp_ieee_inexact 0
		.amdhsa_exception_int_div_zero 0
	.end_amdhsa_kernel
	.section	.text._ZL12rwkv_wkv_f32ILi128EEviiiiPKfS1_S1_S1_S1_S1_Pf,"axG",@progbits,_ZL12rwkv_wkv_f32ILi128EEviiiiPKfS1_S1_S1_S1_S1_Pf,comdat
.Lfunc_end1:
	.size	_ZL12rwkv_wkv_f32ILi128EEviiiiPKfS1_S1_S1_S1_S1_Pf, .Lfunc_end1-_ZL12rwkv_wkv_f32ILi128EEviiiiPKfS1_S1_S1_S1_S1_Pf
                                        ; -- End function
	.set _ZL12rwkv_wkv_f32ILi128EEviiiiPKfS1_S1_S1_S1_S1_Pf.num_vgpr, 128
	.set _ZL12rwkv_wkv_f32ILi128EEviiiiPKfS1_S1_S1_S1_S1_Pf.num_agpr, 0
	.set _ZL12rwkv_wkv_f32ILi128EEviiiiPKfS1_S1_S1_S1_S1_Pf.numbered_sgpr, 24
	.set _ZL12rwkv_wkv_f32ILi128EEviiiiPKfS1_S1_S1_S1_S1_Pf.num_named_barrier, 0
	.set _ZL12rwkv_wkv_f32ILi128EEviiiiPKfS1_S1_S1_S1_S1_Pf.private_seg_size, 172
	.set _ZL12rwkv_wkv_f32ILi128EEviiiiPKfS1_S1_S1_S1_S1_Pf.uses_vcc, 1
	.set _ZL12rwkv_wkv_f32ILi128EEviiiiPKfS1_S1_S1_S1_S1_Pf.uses_flat_scratch, 0
	.set _ZL12rwkv_wkv_f32ILi128EEviiiiPKfS1_S1_S1_S1_S1_Pf.has_dyn_sized_stack, 0
	.set _ZL12rwkv_wkv_f32ILi128EEviiiiPKfS1_S1_S1_S1_S1_Pf.has_recursion, 0
	.set _ZL12rwkv_wkv_f32ILi128EEviiiiPKfS1_S1_S1_S1_S1_Pf.has_indirect_call, 0
	.section	.AMDGPU.csdata,"",@progbits
; Kernel info:
; codeLenInByte = 12076
; TotalNumSgprs: 30
; NumVgprs: 128
; NumAgprs: 0
; TotalNumVgprs: 128
; ScratchSize: 172
; MemoryBound: 0
; FloatMode: 240
; IeeeMode: 1
; LDSByteSize: 2048 bytes/workgroup (compile time only)
; SGPRBlocks: 3
; VGPRBlocks: 15
; NumSGPRsForWavesPerEU: 30
; NumVGPRsForWavesPerEU: 128
; AccumOffset: 128
; Occupancy: 4
; WaveLimiterHint : 1
; COMPUTE_PGM_RSRC2:SCRATCH_EN: 1
; COMPUTE_PGM_RSRC2:USER_SGPR: 2
; COMPUTE_PGM_RSRC2:TRAP_HANDLER: 0
; COMPUTE_PGM_RSRC2:TGID_X_EN: 1
; COMPUTE_PGM_RSRC2:TGID_Y_EN: 0
; COMPUTE_PGM_RSRC2:TGID_Z_EN: 0
; COMPUTE_PGM_RSRC2:TIDIG_COMP_CNT: 0
; COMPUTE_PGM_RSRC3_GFX90A:ACCUM_OFFSET: 31
; COMPUTE_PGM_RSRC3_GFX90A:TG_SPLIT: 0
	.section	.text._ZL13rwkv_wkv7_f32ILi64EEviiiiPKfS1_S1_S1_S1_S1_S1_Pf,"axG",@progbits,_ZL13rwkv_wkv7_f32ILi64EEviiiiPKfS1_S1_S1_S1_S1_S1_Pf,comdat
	.globl	_ZL13rwkv_wkv7_f32ILi64EEviiiiPKfS1_S1_S1_S1_S1_S1_Pf ; -- Begin function _ZL13rwkv_wkv7_f32ILi64EEviiiiPKfS1_S1_S1_S1_S1_S1_Pf
	.p2align	8
	.type	_ZL13rwkv_wkv7_f32ILi64EEviiiiPKfS1_S1_S1_S1_S1_S1_Pf,@function
_ZL13rwkv_wkv7_f32ILi64EEviiiiPKfS1_S1_S1_S1_S1_S1_Pf: ; @_ZL13rwkv_wkv7_f32ILi64EEviiiiPKfS1_S1_S1_S1_S1_S1_Pf
; %bb.0:
	s_load_dwordx4 s[20:23], s[0:1], 0x0
	s_load_dwordx16 s[4:19], s[0:1], 0x10
	s_abs_i32 s0, s2
	s_waitcnt lgkmcnt(0)
	s_abs_i32 s3, s23
	v_cvt_f32_u32_e32 v1, s3
	v_mov_b32_e32 v2, s16
	v_mov_b32_e32 v3, s17
	s_sub_i32 s16, 0, s3
	v_rcp_iflag_f32_e32 v1, v1
	s_xor_b32 s1, s2, s23
	s_ashr_i32 s1, s1, 31
	v_mul_f32_e32 v1, 0x4f7ffffe, v1
	v_cvt_u32_f32_e32 v1, v1
	s_nop 0
	v_readfirstlane_b32 s17, v1
	s_mul_i32 s16, s16, s17
	s_mul_hi_u32 s16, s17, s16
	s_add_i32 s17, s17, s16
	s_mul_hi_u32 s16, s0, s17
	s_mul_i32 s17, s16, s3
	s_sub_i32 s0, s0, s17
	s_add_i32 s24, s16, 1
	s_sub_i32 s17, s0, s3
	s_cmp_ge_u32 s0, s3
	s_cselect_b32 s16, s24, s16
	s_cselect_b32 s0, s17, s0
	s_add_i32 s17, s16, 1
	s_cmp_ge_u32 s0, s3
	s_cselect_b32 s0, s17, s16
	s_xor_b32 s0, s0, s1
	s_sub_i32 s0, s0, s1
	s_mul_i32 s1, s0, s23
	s_mul_i32 s3, s22, s0
	s_sub_i32 s1, s2, s1
	s_lshl_b32 s2, s3, 6
	s_lshl_b32 s3, s1, 12
	s_add_i32 s3, s3, s2
	v_lshl_add_u32 v66, v0, 6, s3
	v_ashrrev_i32_e32 v67, 31, v66
	v_lshl_add_u64 v[58:59], v[66:67], 2, v[2:3]
	global_load_dwordx4 v[6:9], v[58:59], off offset:48
	global_load_dwordx4 v[14:17], v[58:59], off offset:32
	;; [unrolled: 1-line block ×3, first 2 shown]
	global_load_dwordx4 v[22:25], v[58:59], off
	global_load_dwordx4 v[2:5], v[58:59], off offset:112
	global_load_dwordx4 v[10:13], v[58:59], off offset:96
	global_load_dwordx4 v[54:57], v[58:59], off offset:80
	global_load_dwordx4 v[62:65], v[58:59], off offset:64
	global_load_dwordx4 v[26:29], v[58:59], off offset:176
	global_load_dwordx4 v[30:33], v[58:59], off offset:160
	global_load_dwordx4 v[34:37], v[58:59], off offset:144
	global_load_dwordx4 v[42:45], v[58:59], off offset:128
	global_load_dwordx4 v[38:41], v[58:59], off offset:240
	global_load_dwordx4 v[46:49], v[58:59], off offset:224
	global_load_dwordx4 v[50:53], v[58:59], off offset:208
	s_nop 0
	global_load_dwordx4 v[58:61], v[58:59], off offset:192
	s_abs_i32 s2, s20
	v_cvt_f32_u32_e32 v1, s2
	s_xor_b32 s3, s21, s20
	s_sub_i32 s17, 0, s2
	s_abs_i32 s16, s21
	v_rcp_iflag_f32_e32 v1, v1
	s_ashr_i32 s3, s3, 31
	v_mul_f32_e32 v1, 0x4f7ffffe, v1
	v_cvt_u32_f32_e32 v1, v1
	s_nop 0
	v_readfirstlane_b32 s20, v1
	s_mul_i32 s17, s17, s20
	s_mul_hi_u32 s17, s20, s17
	s_add_i32 s20, s20, s17
	s_mul_hi_u32 s17, s16, s20
	s_mul_i32 s20, s17, s2
	s_sub_i32 s16, s16, s20
	s_add_i32 s20, s17, 1
	s_sub_i32 s23, s16, s2
	s_cmp_ge_u32 s16, s2
	s_cselect_b32 s17, s20, s17
	s_cselect_b32 s16, s23, s16
	s_add_i32 s20, s17, 1
	s_cmp_ge_u32 s16, s2
	s_cselect_b32 s2, s20, s17
	s_xor_b32 s2, s2, s3
	s_sub_i32 s2, s2, s3
	s_mul_i32 s2, s2, s22
	s_mul_i32 s3, s2, s0
	s_add_i32 s0, s0, 1
	v_lshl_add_u32 v1, s1, 6, v0
	s_mul_i32 s2, s2, s0
	v_add_u32_e32 v68, s3, v1
	v_add_u32_e32 v67, s2, v1
	v_cmp_lt_i32_e32 vcc, v68, v67
	s_and_saveexec_b64 s[0:1], vcc
	s_cbranch_execz .LBB2_4
; %bb.1:
	v_lshlrev_b32_e32 v85, 2, v0
	v_ashrrev_i32_e32 v69, 31, v68
	s_ashr_i32 s23, s22, 31
	v_add_u32_e32 v86, 0x300, v85
	v_add_u32_e32 v87, 0x400, v85
	;; [unrolled: 1-line block ×4, first 2 shown]
	v_lshlrev_b64 v[0:1], 2, v[68:69]
	s_lshl_b64 s[16:17], s[22:23], 2
	s_mov_b64 s[2:3], 0
	v_mov_b32_e32 v69, 0
.LBB2_2:                                ; =>This Inner Loop Header: Depth=1
	v_lshl_add_u64 v[70:71], s[4:5], 0, v[0:1]
	s_barrier
	global_load_dword v72, v[70:71], off
	v_lshl_add_u64 v[70:71], s[6:7], 0, v[0:1]
	global_load_dword v73, v[70:71], off
	v_lshl_add_u64 v[70:71], s[8:9], 0, v[0:1]
	;; [unrolled: 2-line block ×4, first 2 shown]
	global_load_dword v70, v[70:71], off
	v_add_u32_e32 v68, s22, v68
	v_cmp_ge_i32_e32 vcc, v68, v67
	s_or_b64 s[2:3], vcc, s[2:3]
	s_waitcnt vmcnt(4)
	ds_write_b32 v86, v72
	s_waitcnt vmcnt(3)
	ds_write_b32 v87, v73
	;; [unrolled: 2-line block ×5, first 2 shown]
	s_waitcnt lgkmcnt(0)
	s_barrier
	ds_read_b128 v[70:73], v69
	ds_read_b128 v[74:77], v69 offset:208
	ds_read_b128 v[78:81], v69 offset:224
	;; [unrolled: 1-line block ×3, first 2 shown]
	s_waitcnt lgkmcnt(3)
	v_fma_f32 v90, v70, v22, 0
	v_fmac_f32_e32 v90, v71, v23
	v_fmac_f32_e32 v90, v72, v24
	v_fmac_f32_e32 v90, v73, v25
	ds_read_b128 v[70:73], v69 offset:1024
	s_waitcnt lgkmcnt(0)
	v_pk_mul_f32 v[22:23], v[22:23], v[70:71]
	v_pk_mul_f32 v[24:25], v[24:25], v[72:73]
	ds_read_b128 v[70:73], v69 offset:16
	s_waitcnt lgkmcnt(0)
	v_fmac_f32_e32 v90, v70, v18
	v_fmac_f32_e32 v90, v71, v19
	v_fmac_f32_e32 v90, v72, v20
	v_fmac_f32_e32 v90, v73, v21
	ds_read_b128 v[70:73], v69 offset:1040
	s_waitcnt lgkmcnt(0)
	v_pk_mul_f32 v[18:19], v[18:19], v[70:71]
	v_pk_mul_f32 v[20:21], v[20:21], v[72:73]
	ds_read_b128 v[70:73], v69 offset:32
	s_waitcnt lgkmcnt(0)
	v_fmac_f32_e32 v90, v70, v14
	;; [unrolled: 10-line block ×12, first 2 shown]
	v_fmac_f32_e32 v90, v71, v59
	v_fmac_f32_e32 v90, v72, v60
	;; [unrolled: 1-line block ×3, first 2 shown]
	ds_read_b128 v[70:73], v69 offset:1216
	s_waitcnt lgkmcnt(0)
	v_pk_mul_f32 v[70:71], v[58:59], v[70:71]
	v_pk_mul_f32 v[72:73], v[60:61], v[72:73]
	v_pk_mul_f32 v[60:61], v[74:75], v[50:51]
	v_pk_mul_f32 v[58:59], v[76:77], v[52:53]
	ds_read_b128 v[74:77], v69 offset:1232
	s_waitcnt lgkmcnt(0)
	v_pk_mul_f32 v[74:75], v[50:51], v[74:75]
	v_pk_mul_f32 v[76:77], v[52:53], v[76:77]
	v_pk_mul_f32 v[52:53], v[78:79], v[46:47]
	v_pk_mul_f32 v[50:51], v[80:81], v[48:49]
	;; [unrolled: 6-line block ×3, first 2 shown]
	ds_read_b128 v[92:95], v69 offset:1264
	s_waitcnt lgkmcnt(0)
	v_pk_mul_f32 v[92:93], v[38:39], v[92:93]
	v_lshl_add_u64 v[38:39], s[10:11], 0, v[0:1]
	global_load_dword v84, v[38:39], off
	v_pk_mul_f32 v[82:83], v[40:41], v[94:95]
	ds_read_b128 v[38:41], v69 offset:512
	s_waitcnt vmcnt(0) lgkmcnt(0)
	v_pk_fma_f32 v[22:23], v[84:85], v[38:39], v[22:23] op_sel_hi:[0,1,1]
	v_pk_fma_f32 v[24:25], v[84:85], v[40:41], v[24:25] op_sel_hi:[0,1,1]
	ds_read_b128 v[38:41], v69 offset:528
	s_waitcnt lgkmcnt(0)
	v_pk_fma_f32 v[18:19], v[84:85], v[38:39], v[18:19] op_sel_hi:[0,1,1]
	v_pk_fma_f32 v[20:21], v[84:85], v[40:41], v[20:21] op_sel_hi:[0,1,1]
	ds_read_b128 v[38:41], v69 offset:544
	s_waitcnt lgkmcnt(0)
	;; [unrolled: 4-line block ×11, first 2 shown]
	v_pk_fma_f32 v[98:99], v[84:85], v[2:3], v[26:27] op_sel_hi:[0,1,1]
	v_pk_fma_f32 v[100:101], v[84:85], v[4:5], v[28:29] op_sel_hi:[0,1,1]
	ds_read_b128 v[2:5], v69 offset:704
	ds_read_b128 v[26:29], v69 offset:384
	s_waitcnt lgkmcnt(1)
	v_pk_fma_f32 v[70:71], v[84:85], v[2:3], v[70:71] op_sel_hi:[0,1,1]
	v_pk_fma_f32 v[72:73], v[84:85], v[4:5], v[72:73] op_sel_hi:[0,1,1]
	ds_read_b128 v[2:5], v69 offset:720
	s_waitcnt lgkmcnt(0)
	v_pk_fma_f32 v[74:75], v[84:85], v[2:3], v[74:75] op_sel_hi:[0,1,1]
	v_pk_fma_f32 v[76:77], v[84:85], v[4:5], v[76:77] op_sel_hi:[0,1,1]
	;; [unrolled: 4-line block ×3, first 2 shown]
	ds_read_b128 v[2:5], v69 offset:752
	s_waitcnt lgkmcnt(0)
	v_pk_fma_f32 v[92:93], v[84:85], v[2:3], v[92:93] op_sel_hi:[0,1,1]
	v_add_f32_e32 v2, v90, v60
	v_add_f32_e32 v2, v2, v61
	;; [unrolled: 1-line block ×11, first 2 shown]
	v_pk_fma_f32 v[82:83], v[84:85], v[4:5], v[82:83] op_sel_hi:[0,1,1]
	v_add_f32_e32 v84, v2, v47
	ds_read_b128 v[2:5], v69 offset:256
	v_pk_fma_f32 v[42:43], v[84:85], v[26:27], v[42:43] op_sel_hi:[0,1,1]
	v_pk_fma_f32 v[44:45], v[84:85], v[28:29], v[44:45] op_sel_hi:[0,1,1]
	ds_read_b128 v[26:29], v69 offset:400
	s_waitcnt lgkmcnt(1)
	v_pk_fma_f32 v[22:23], v[84:85], v[2:3], v[22:23] op_sel_hi:[0,1,1]
	v_pk_fma_f32 v[24:25], v[84:85], v[4:5], v[24:25] op_sel_hi:[0,1,1]
	ds_read_b128 v[2:5], v69 offset:272
	s_waitcnt lgkmcnt(1)
	;; [unrolled: 4-line block ×6, first 2 shown]
	v_pk_fma_f32 v[26:27], v[84:85], v[26:27], v[98:99] op_sel_hi:[0,1,1]
	v_pk_fma_f32 v[28:29], v[84:85], v[28:29], v[100:101] op_sel_hi:[0,1,1]
	s_waitcnt lgkmcnt(0)
	v_pk_fma_f32 v[6:7], v[84:85], v[2:3], v[6:7] op_sel_hi:[0,1,1]
	v_pk_fma_f32 v[8:9], v[84:85], v[4:5], v[8:9] op_sel_hi:[0,1,1]
	ds_read_b128 v[2:5], v69 offset:320
	s_waitcnt lgkmcnt(0)
	v_pk_fma_f32 v[62:63], v[84:85], v[2:3], v[38:39] op_sel_hi:[0,1,1]
	v_pk_fma_f32 v[64:65], v[84:85], v[4:5], v[40:41] op_sel_hi:[0,1,1]
	ds_read_b128 v[2:5], v69 offset:336
	ds_read_b128 v[38:41], v69 offset:448
	s_waitcnt lgkmcnt(1)
	v_pk_fma_f32 v[54:55], v[84:85], v[2:3], v[54:55] op_sel_hi:[0,1,1]
	v_pk_fma_f32 v[56:57], v[84:85], v[4:5], v[56:57] op_sel_hi:[0,1,1]
	ds_read_b128 v[2:5], v69 offset:352
	s_waitcnt lgkmcnt(1)
	v_pk_fma_f32 v[58:59], v[84:85], v[38:39], v[70:71] op_sel_hi:[0,1,1]
	v_pk_fma_f32 v[60:61], v[84:85], v[40:41], v[72:73] op_sel_hi:[0,1,1]
	ds_read_b128 v[38:41], v69 offset:464
	ds_read_b128 v[70:73], v69 offset:768
	s_waitcnt lgkmcnt(2)
	v_pk_fma_f32 v[10:11], v[84:85], v[2:3], v[10:11] op_sel_hi:[0,1,1]
	v_pk_fma_f32 v[12:13], v[84:85], v[4:5], v[12:13] op_sel_hi:[0,1,1]
	ds_read_b128 v[2:5], v69 offset:368
	s_waitcnt lgkmcnt(2)
	v_pk_fma_f32 v[50:51], v[84:85], v[38:39], v[74:75] op_sel_hi:[0,1,1]
	v_pk_fma_f32 v[52:53], v[84:85], v[40:41], v[76:77] op_sel_hi:[0,1,1]
	;; [unrolled: 4-line block ×3, first 2 shown]
	s_waitcnt lgkmcnt(0)
	v_pk_fma_f32 v[46:47], v[84:85], v[38:39], v[78:79] op_sel_hi:[0,1,1]
	v_pk_fma_f32 v[48:49], v[84:85], v[40:41], v[80:81] op_sel_hi:[0,1,1]
	ds_read_b128 v[38:41], v69 offset:496
	s_waitcnt lgkmcnt(0)
	v_pk_fma_f32 v[40:41], v[84:85], v[40:41], v[82:83] op_sel_hi:[0,1,1]
	v_fma_f32 v82, v22, v70, 0
	v_fmac_f32_e32 v82, v23, v71
	v_fmac_f32_e32 v82, v24, v72
	;; [unrolled: 1-line block ×3, first 2 shown]
	ds_read_b128 v[70:73], v69 offset:784
	v_pk_fma_f32 v[38:39], v[84:85], v[38:39], v[92:93] op_sel_hi:[0,1,1]
	s_waitcnt lgkmcnt(0)
	v_fmac_f32_e32 v82, v18, v70
	v_fmac_f32_e32 v82, v19, v71
	v_fmac_f32_e32 v82, v20, v72
	v_fmac_f32_e32 v82, v21, v73
	ds_read_b128 v[70:73], v69 offset:800
	s_waitcnt lgkmcnt(0)
	v_fmac_f32_e32 v82, v14, v70
	v_fmac_f32_e32 v82, v15, v71
	v_fmac_f32_e32 v82, v16, v72
	v_fmac_f32_e32 v82, v17, v73
	ds_read_b128 v[70:73], v69 offset:816
	;; [unrolled: 6-line block ×12, first 2 shown]
	s_waitcnt lgkmcnt(0)
	v_pk_mul_f32 v[74:75], v[50:51], v[70:71]
	v_pk_mul_f32 v[76:77], v[52:53], v[72:73]
	ds_read_b128 v[70:73], v69 offset:992
	v_add_f32_e32 v74, v82, v74
	v_add_f32_e32 v74, v74, v75
	v_add_f32_e32 v74, v74, v76
	v_add_f32_e32 v74, v74, v77
	s_waitcnt lgkmcnt(0)
	v_pk_mul_f32 v[78:79], v[46:47], v[70:71]
	v_pk_mul_f32 v[80:81], v[48:49], v[72:73]
	ds_read_b128 v[70:73], v69 offset:1008
	v_add_f32_e32 v74, v74, v78
	v_add_f32_e32 v74, v74, v79
	;; [unrolled: 1-line block ×4, first 2 shown]
	s_waitcnt lgkmcnt(0)
	v_pk_mul_f32 v[70:71], v[38:39], v[70:71]
	v_pk_mul_f32 v[72:73], v[40:41], v[72:73]
	v_add_f32_e32 v70, v74, v70
	v_add_f32_e32 v70, v70, v71
	;; [unrolled: 1-line block ×4, first 2 shown]
	v_lshl_add_u64 v[72:73], s[18:19], 0, v[0:1]
	v_lshl_add_u64 v[0:1], v[0:1], 0, s[16:17]
	global_store_dword v[72:73], v70, off
	s_andn2_b64 exec, exec, s[2:3]
	s_cbranch_execnz .LBB2_2
; %bb.3:
	s_or_b64 exec, exec, s[2:3]
.LBB2_4:
	s_or_b64 exec, exec, s[0:1]
	s_mul_i32 s0, s22, s21
	v_add_u32_e32 v0, s0, v66
	v_ashrrev_i32_e32 v1, 31, v0
	v_lshl_add_u64 v[0:1], v[0:1], 2, s[18:19]
	s_waitcnt vmcnt(12)
	global_store_dwordx4 v[0:1], v[22:25], off
	global_store_dwordx4 v[0:1], v[18:21], off offset:16
	global_store_dwordx4 v[0:1], v[14:17], off offset:32
	global_store_dwordx4 v[0:1], v[6:9], off offset:48
	s_waitcnt vmcnt(12)
	global_store_dwordx4 v[0:1], v[62:65], off offset:64
	global_store_dwordx4 v[0:1], v[54:57], off offset:80
	global_store_dwordx4 v[0:1], v[10:13], off offset:96
	global_store_dwordx4 v[0:1], v[2:5], off offset:112
	s_waitcnt vmcnt(12)
	global_store_dwordx4 v[0:1], v[42:45], off offset:128
	;; [unrolled: 5-line block ×3, first 2 shown]
	global_store_dwordx4 v[0:1], v[50:53], off offset:208
	global_store_dwordx4 v[0:1], v[46:49], off offset:224
	;; [unrolled: 1-line block ×3, first 2 shown]
	s_endpgm
	.section	.rodata,"a",@progbits
	.p2align	6, 0x0
	.amdhsa_kernel _ZL13rwkv_wkv7_f32ILi64EEviiiiPKfS1_S1_S1_S1_S1_S1_Pf
		.amdhsa_group_segment_fixed_size 1280
		.amdhsa_private_segment_fixed_size 0
		.amdhsa_kernarg_size 80
		.amdhsa_user_sgpr_count 2
		.amdhsa_user_sgpr_dispatch_ptr 0
		.amdhsa_user_sgpr_queue_ptr 0
		.amdhsa_user_sgpr_kernarg_segment_ptr 1
		.amdhsa_user_sgpr_dispatch_id 0
		.amdhsa_user_sgpr_kernarg_preload_length 0
		.amdhsa_user_sgpr_kernarg_preload_offset 0
		.amdhsa_user_sgpr_private_segment_size 0
		.amdhsa_uses_dynamic_stack 0
		.amdhsa_enable_private_segment 0
		.amdhsa_system_sgpr_workgroup_id_x 1
		.amdhsa_system_sgpr_workgroup_id_y 0
		.amdhsa_system_sgpr_workgroup_id_z 0
		.amdhsa_system_sgpr_workgroup_info 0
		.amdhsa_system_vgpr_workitem_id 0
		.amdhsa_next_free_vgpr 102
		.amdhsa_next_free_sgpr 25
		.amdhsa_accum_offset 104
		.amdhsa_reserve_vcc 1
		.amdhsa_float_round_mode_32 0
		.amdhsa_float_round_mode_16_64 0
		.amdhsa_float_denorm_mode_32 3
		.amdhsa_float_denorm_mode_16_64 3
		.amdhsa_dx10_clamp 1
		.amdhsa_ieee_mode 1
		.amdhsa_fp16_overflow 0
		.amdhsa_tg_split 0
		.amdhsa_exception_fp_ieee_invalid_op 0
		.amdhsa_exception_fp_denorm_src 0
		.amdhsa_exception_fp_ieee_div_zero 0
		.amdhsa_exception_fp_ieee_overflow 0
		.amdhsa_exception_fp_ieee_underflow 0
		.amdhsa_exception_fp_ieee_inexact 0
		.amdhsa_exception_int_div_zero 0
	.end_amdhsa_kernel
	.section	.text._ZL13rwkv_wkv7_f32ILi64EEviiiiPKfS1_S1_S1_S1_S1_S1_Pf,"axG",@progbits,_ZL13rwkv_wkv7_f32ILi64EEviiiiPKfS1_S1_S1_S1_S1_S1_Pf,comdat
.Lfunc_end2:
	.size	_ZL13rwkv_wkv7_f32ILi64EEviiiiPKfS1_S1_S1_S1_S1_S1_Pf, .Lfunc_end2-_ZL13rwkv_wkv7_f32ILi64EEviiiiPKfS1_S1_S1_S1_S1_S1_Pf
                                        ; -- End function
	.set _ZL13rwkv_wkv7_f32ILi64EEviiiiPKfS1_S1_S1_S1_S1_S1_Pf.num_vgpr, 102
	.set _ZL13rwkv_wkv7_f32ILi64EEviiiiPKfS1_S1_S1_S1_S1_S1_Pf.num_agpr, 0
	.set _ZL13rwkv_wkv7_f32ILi64EEviiiiPKfS1_S1_S1_S1_S1_S1_Pf.numbered_sgpr, 25
	.set _ZL13rwkv_wkv7_f32ILi64EEviiiiPKfS1_S1_S1_S1_S1_S1_Pf.num_named_barrier, 0
	.set _ZL13rwkv_wkv7_f32ILi64EEviiiiPKfS1_S1_S1_S1_S1_S1_Pf.private_seg_size, 0
	.set _ZL13rwkv_wkv7_f32ILi64EEviiiiPKfS1_S1_S1_S1_S1_S1_Pf.uses_vcc, 1
	.set _ZL13rwkv_wkv7_f32ILi64EEviiiiPKfS1_S1_S1_S1_S1_S1_Pf.uses_flat_scratch, 0
	.set _ZL13rwkv_wkv7_f32ILi64EEviiiiPKfS1_S1_S1_S1_S1_S1_Pf.has_dyn_sized_stack, 0
	.set _ZL13rwkv_wkv7_f32ILi64EEviiiiPKfS1_S1_S1_S1_S1_S1_Pf.has_recursion, 0
	.set _ZL13rwkv_wkv7_f32ILi64EEviiiiPKfS1_S1_S1_S1_S1_S1_Pf.has_indirect_call, 0
	.section	.AMDGPU.csdata,"",@progbits
; Kernel info:
; codeLenInByte = 3248
; TotalNumSgprs: 31
; NumVgprs: 102
; NumAgprs: 0
; TotalNumVgprs: 102
; ScratchSize: 0
; MemoryBound: 0
; FloatMode: 240
; IeeeMode: 1
; LDSByteSize: 1280 bytes/workgroup (compile time only)
; SGPRBlocks: 3
; VGPRBlocks: 12
; NumSGPRsForWavesPerEU: 31
; NumVGPRsForWavesPerEU: 102
; AccumOffset: 104
; Occupancy: 4
; WaveLimiterHint : 0
; COMPUTE_PGM_RSRC2:SCRATCH_EN: 0
; COMPUTE_PGM_RSRC2:USER_SGPR: 2
; COMPUTE_PGM_RSRC2:TRAP_HANDLER: 0
; COMPUTE_PGM_RSRC2:TGID_X_EN: 1
; COMPUTE_PGM_RSRC2:TGID_Y_EN: 0
; COMPUTE_PGM_RSRC2:TGID_Z_EN: 0
; COMPUTE_PGM_RSRC2:TIDIG_COMP_CNT: 0
; COMPUTE_PGM_RSRC3_GFX90A:ACCUM_OFFSET: 25
; COMPUTE_PGM_RSRC3_GFX90A:TG_SPLIT: 0
	.section	.text._ZL13rwkv_wkv7_f32ILi128EEviiiiPKfS1_S1_S1_S1_S1_S1_Pf,"axG",@progbits,_ZL13rwkv_wkv7_f32ILi128EEviiiiPKfS1_S1_S1_S1_S1_S1_Pf,comdat
	.globl	_ZL13rwkv_wkv7_f32ILi128EEviiiiPKfS1_S1_S1_S1_S1_S1_Pf ; -- Begin function _ZL13rwkv_wkv7_f32ILi128EEviiiiPKfS1_S1_S1_S1_S1_S1_Pf
	.p2align	8
	.type	_ZL13rwkv_wkv7_f32ILi128EEviiiiPKfS1_S1_S1_S1_S1_S1_Pf,@function
_ZL13rwkv_wkv7_f32ILi128EEviiiiPKfS1_S1_S1_S1_S1_S1_Pf: ; @_ZL13rwkv_wkv7_f32ILi128EEviiiiPKfS1_S1_S1_S1_S1_S1_Pf
; %bb.0:
	s_load_dwordx4 s[20:23], s[0:1], 0x0
	s_load_dwordx16 s[4:19], s[0:1], 0x10
	s_abs_i32 s1, s2
	s_waitcnt lgkmcnt(0)
	s_abs_i32 s3, s23
	v_cvt_f32_u32_e32 v1, s3
	v_mov_b32_e32 v2, s16
	v_mov_b32_e32 v3, s17
	s_sub_i32 s16, 0, s3
	v_rcp_iflag_f32_e32 v1, v1
	s_xor_b32 s0, s2, s23
	s_ashr_i32 s0, s0, 31
	v_mul_f32_e32 v1, 0x4f7ffffe, v1
	v_cvt_u32_f32_e32 v1, v1
	s_nop 0
	v_readfirstlane_b32 s17, v1
	s_mul_i32 s16, s16, s17
	s_mul_hi_u32 s16, s17, s16
	s_add_i32 s17, s17, s16
	s_mul_hi_u32 s16, s1, s17
	s_mul_i32 s17, s16, s3
	s_sub_i32 s1, s1, s17
	s_add_i32 s17, s16, 1
	s_sub_i32 s24, s1, s3
	s_cmp_ge_u32 s1, s3
	s_cselect_b32 s16, s17, s16
	s_cselect_b32 s1, s24, s1
	s_add_i32 s17, s16, 1
	s_cmp_ge_u32 s1, s3
	s_cselect_b32 s1, s17, s16
	s_xor_b32 s1, s1, s0
	s_sub_i32 s0, s1, s0
	s_mul_i32 s1, s0, s23
	s_sub_i32 s1, s2, s1
	s_mul_i32 s2, s22, s0
	s_lshl_b32 s2, s2, 7
	s_lshl_b32 s3, s1, 14
	s_add_i32 s3, s3, s2
	v_lshl_add_u32 v118, v0, 7, s3
	v_ashrrev_i32_e32 v119, 31, v118
	v_lshl_add_u64 v[6:7], v[118:119], 2, v[2:3]
	global_load_dwordx4 v[42:45], v[6:7], off offset:48
	global_load_dwordx4 v[2:5], v[6:7], off offset:32
	;; [unrolled: 1-line block ×3, first 2 shown]
	global_load_dwordx4 v[8:11], v[6:7], off
	s_abs_i32 s16, s20
	v_cvt_f32_u32_e32 v1, s16
	s_xor_b32 s2, s21, s20
	s_sub_i32 s17, 0, s16
	s_abs_i32 s3, s21
	v_rcp_iflag_f32_e32 v1, v1
	s_ashr_i32 s2, s2, 31
	v_mul_f32_e32 v1, 0x4f7ffffe, v1
	v_cvt_u32_f32_e32 v1, v1
	s_waitcnt vmcnt(0)
	scratch_store_dwordx4 off, v[8:11], off offset:184 ; 16-byte Folded Spill
	global_load_dwordx4 v[8:11], v[6:7], off offset:112
	v_readfirstlane_b32 s20, v1
	s_mul_i32 s17, s17, s20
	s_mul_hi_u32 s17, s20, s17
	s_add_i32 s20, s20, s17
	s_mul_hi_u32 s17, s3, s20
	s_mul_i32 s20, s17, s16
	s_sub_i32 s3, s3, s20
	s_add_i32 s20, s17, 1
	s_sub_i32 s23, s3, s16
	s_cmp_ge_u32 s3, s16
	s_cselect_b32 s17, s20, s17
	s_cselect_b32 s3, s23, s3
	s_add_i32 s20, s17, 1
	s_cmp_ge_u32 s3, s16
	s_cselect_b32 s3, s20, s17
	s_xor_b32 s3, s3, s2
	s_sub_i32 s2, s3, s2
	s_mul_i32 s2, s2, s22
	s_mul_i32 s3, s2, s0
	s_add_i32 s0, s0, 1
	v_lshl_add_u32 v1, s1, 7, v0
	s_mul_i32 s2, s2, s0
	s_waitcnt vmcnt(0)
	scratch_store_dwordx4 off, v[8:11], off offset:200 ; 16-byte Folded Spill
	global_load_dwordx4 v[38:41], v[6:7], off offset:96
	s_nop 0
	global_load_dwordx4 v[8:11], v[6:7], off offset:80
	global_load_dwordx4 v[16:19], v[6:7], off offset:64
	s_waitcnt vmcnt(0)
	scratch_store_dwordx4 off, v[16:19], off offset:168 ; 16-byte Folded Spill
	global_load_dwordx4 v[16:19], v[6:7], off offset:176
	s_waitcnt vmcnt(0)
	scratch_store_dwordx4 off, v[16:19], off offset:48 ; 16-byte Folded Spill
	;; [unrolled: 3-line block ×4, first 2 shown]
	global_load_dwordx4 v[16:19], v[6:7], off offset:128
	s_waitcnt vmcnt(0)
	scratch_store_dwordx4 off, v[16:19], off ; 16-byte Folded Spill
	global_load_dwordx4 v[16:19], v[6:7], off offset:240
	s_waitcnt vmcnt(0)
	scratch_store_dwordx4 off, v[16:19], off offset:112 ; 16-byte Folded Spill
	global_load_dwordx4 v[16:19], v[6:7], off offset:224
	s_waitcnt vmcnt(0)
	scratch_store_dwordx4 off, v[16:19], off offset:96 ; 16-byte Folded Spill
	;; [unrolled: 3-line block ×4, first 2 shown]
	global_load_dwordx4 v[30:33], v[6:7], off offset:304
	global_load_dwordx4 v[106:109], v[6:7], off offset:288
	;; [unrolled: 1-line block ×16, first 2 shown]
	v_add_u32_e32 v6, s3, v1
	v_add_u32_e32 v1, s2, v1
	v_cmp_lt_i32_e32 vcc, v6, v1
	s_and_saveexec_b64 s[0:1], vcc
	s_cbranch_execz .LBB3_4
; %bb.1:
	v_ashrrev_i32_e32 v7, 31, v6
	s_ashr_i32 s23, s22, 31
	v_lshlrev_b32_e32 v0, 2, v0
	v_lshlrev_b64 v[16:17], 2, v[6:7]
	s_lshl_b64 s[16:17], s[22:23], 2
	s_mov_b64 s[2:3], 0
	v_mov_b32_e32 v127, 0
	scratch_store_dwordx2 off, v[118:119], off offset:376 ; 8-byte Folded Spill
	scratch_store_dword off, v0, off offset:372 ; 4-byte Folded Spill
	scratch_store_dwordx4 off, v[42:45], off offset:128 ; 16-byte Folded Spill
	scratch_store_dwordx4 off, v[38:41], off offset:216 ; 16-byte Folded Spill
	;; [unrolled: 1-line block ×5, first 2 shown]
	scratch_store_dword off, v1, off offset:368 ; 4-byte Folded Spill
.LBB3_2:                                ; =>This Inner Loop Header: Depth=1
	v_lshl_add_u64 v[0:1], s[4:5], 0, v[16:17]
	scratch_store_dwordx2 off, v[16:17], off offset:160 ; 8-byte Folded Spill
	scratch_store_dwordx2 off, v[6:7], off offset:264 ; 8-byte Folded Spill
	s_barrier
	global_load_dword v0, v[0:1], off
	s_nop 0
	scratch_load_dword v2, off, off offset:372 ; 4-byte Folded Reload
	s_waitcnt vmcnt(25)
	v_mov_b64_e32 v[78:79], v[122:123]
	v_mov_b64_e32 v[80:81], v[124:125]
	s_waitcnt vmcnt(22)
	v_mov_b64_e32 v[58:59], v[102:103]
	v_mov_b64_e32 v[60:61], v[104:105]
	;; [unrolled: 3-line block ×3, first 2 shown]
	v_mov_b64_e32 v[88:89], v[84:85]
	v_mov_b64_e32 v[86:87], v[82:83]
	v_mov_b64_e32 v[72:73], v[68:69]
	v_mov_b64_e32 v[56:57], v[52:53]
	v_mov_b64_e32 v[46:47], v[94:95]
	v_mov_b64_e32 v[82:83], v[90:91]
	v_mov_b64_e32 v[70:71], v[66:67]
	v_mov_b64_e32 v[68:69], v[32:33]
	v_mov_b64_e32 v[62:63], v[98:99]
	v_mov_b64_e32 v[54:55], v[50:51]
	v_mov_b64_e32 v[50:51], v[114:115]
	v_mov_b64_e32 v[48:49], v[96:97]
	v_mov_b64_e32 v[44:45], v[36:37]
	v_mov_b64_e32 v[84:85], v[92:93]
	s_waitcnt vmcnt(13)
	v_mov_b64_e32 v[92:93], v[28:29]
	v_mov_b64_e32 v[96:97], v[24:25]
	;; [unrolled: 1-line block ×10, first 2 shown]
	s_waitcnt vmcnt(12)
	v_mov_b64_e32 v[38:39], v[110:111]
	v_mov_b64_e32 v[40:41], v[112:113]
	s_waitcnt vmcnt(0)
	v_add_u32_e32 v1, 0x600, v2
	ds_write_b32 v1, v0
	v_lshl_add_u64 v[0:1], s[6:7], 0, v[16:17]
	global_load_dword v0, v[0:1], off
	v_add_u32_e32 v1, 0x800, v2
	s_waitcnt vmcnt(0)
	ds_write_b32 v1, v0
	v_lshl_add_u64 v[0:1], s[8:9], 0, v[16:17]
	global_load_dword v0, v[0:1], off
	v_add_u32_e32 v1, 0x400, v2
	s_waitcnt vmcnt(0)
	ds_write_b32 v1, v0
	v_lshl_add_u64 v[0:1], s[12:13], 0, v[16:17]
	global_load_dword v0, v[0:1], off
	s_waitcnt vmcnt(0)
	ds_write_b32 v2, v0
	v_lshl_add_u64 v[0:1], s[14:15], 0, v[16:17]
	global_load_dword v0, v[0:1], off
	v_add_u32_e32 v1, 0x200, v2
	s_waitcnt vmcnt(0)
	ds_write_b32 v1, v0
	s_waitcnt lgkmcnt(0)
	s_barrier
	ds_read_b128 v[6:9], v127
	ds_read_b128 v[10:13], v127 offset:16
	ds_read_b128 v[14:17], v127 offset:32
	scratch_load_dwordx4 v[118:121], off, off offset:184 ; 16-byte Folded Reload
	scratch_load_dwordx4 v[0:3], off, off offset:144 ; 16-byte Folded Reload
	;; [unrolled: 1-line block ×3, first 2 shown]
	ds_read_b128 v[18:21], v127 offset:48
	s_waitcnt vmcnt(2) lgkmcnt(3)
	v_fma_f32 v126, v6, v118, 0
	v_fmac_f32_e32 v126, v7, v119
	v_fmac_f32_e32 v126, v8, v120
	;; [unrolled: 1-line block ×3, first 2 shown]
	s_waitcnt vmcnt(0) lgkmcnt(2)
	v_fmac_f32_e32 v126, v10, v122
	v_fmac_f32_e32 v126, v11, v123
	;; [unrolled: 1-line block ×4, first 2 shown]
	s_waitcnt lgkmcnt(1)
	v_fmac_f32_e32 v126, v14, v0
	v_fmac_f32_e32 v126, v15, v1
	;; [unrolled: 1-line block ×4, first 2 shown]
	scratch_load_dwordx4 v[0:3], off, off offset:128 ; 16-byte Folded Reload
	s_waitcnt vmcnt(0) lgkmcnt(0)
	v_fmac_f32_e32 v126, v18, v0
	v_fmac_f32_e32 v126, v19, v1
	;; [unrolled: 1-line block ×4, first 2 shown]
	scratch_load_dwordx4 v[34:37], off, off offset:112 ; 16-byte Folded Reload
	scratch_load_dwordx4 v[30:33], off, off offset:96 ; 16-byte Folded Reload
	;; [unrolled: 1-line block ×8, first 2 shown]
	scratch_load_dwordx4 v[0:3], off, off   ; 16-byte Folded Reload
	scratch_load_dwordx4 v[98:101], off, off offset:168 ; 16-byte Folded Reload
	scratch_load_dwordx4 v[110:113], off, off offset:216 ; 16-byte Folded Reload
	;; [unrolled: 1-line block ×3, first 2 shown]
	ds_read_b128 v[6:9], v127 offset:64
	scratch_store_dwordx4 off, v[66:69], off offset:352 ; 16-byte Folded Spill
	scratch_store_dwordx4 off, v[50:53], off offset:336 ; 16-byte Folded Spill
	;; [unrolled: 1-line block ×6, first 2 shown]
	s_waitcnt vmcnt(17)
	scratch_store_dwordx4 off, v[34:37], off offset:112 ; 16-byte Folded Spill
	s_waitcnt vmcnt(17)
	scratch_store_dwordx4 off, v[30:33], off offset:96 ; 16-byte Folded Spill
	;; [unrolled: 2-line block ×7, first 2 shown]
	s_waitcnt vmcnt(16)
	scratch_store_dwordx4 off, v[0:3], off  ; 16-byte Folded Spill
	s_waitcnt vmcnt(16) lgkmcnt(0)
	v_fmac_f32_e32 v126, v6, v98
	v_fmac_f32_e32 v126, v7, v99
	;; [unrolled: 1-line block ×4, first 2 shown]
	ds_read_b128 v[6:9], v127 offset:80
	s_waitcnt vmcnt(14) lgkmcnt(0)
	v_fmac_f32_e32 v126, v6, v106
	v_fmac_f32_e32 v126, v7, v107
	v_fmac_f32_e32 v126, v8, v108
	v_fmac_f32_e32 v126, v9, v109
	ds_read_b128 v[6:9], v127 offset:96
	s_waitcnt lgkmcnt(0)
	v_fmac_f32_e32 v126, v6, v110
	v_fmac_f32_e32 v126, v7, v111
	v_fmac_f32_e32 v126, v8, v112
	v_fmac_f32_e32 v126, v9, v113
	ds_read_b128 v[6:9], v127 offset:112
	s_waitcnt lgkmcnt(0)
	;; [unrolled: 6-line block ×20, first 2 shown]
	v_fmac_f32_e32 v126, v6, v46
	v_fmac_f32_e32 v126, v7, v47
	;; [unrolled: 1-line block ×4, first 2 shown]
	ds_read_b128 v[6:9], v127 offset:416
	v_mov_b64_e32 v[48:49], v[44:45]
	v_mov_b64_e32 v[46:47], v[42:43]
	s_waitcnt lgkmcnt(0)
	v_fmac_f32_e32 v126, v6, v42
	v_fmac_f32_e32 v126, v7, v43
	;; [unrolled: 1-line block ×4, first 2 shown]
	ds_read_b128 v[6:9], v127 offset:432
	v_mov_b64_e32 v[42:43], v[82:83]
	v_mov_b64_e32 v[44:45], v[84:85]
	s_waitcnt lgkmcnt(0)
	v_fmac_f32_e32 v126, v6, v82
	v_fmac_f32_e32 v126, v7, v83
	;; [unrolled: 1-line block ×4, first 2 shown]
	ds_read_b128 v[6:9], v127 offset:448
	s_waitcnt lgkmcnt(0)
	v_fmac_f32_e32 v126, v6, v38
	v_fmac_f32_e32 v126, v7, v39
	;; [unrolled: 1-line block ×4, first 2 shown]
	ds_read_b128 v[6:9], v127 offset:464
	s_waitcnt lgkmcnt(0)
	v_pk_mul_f32 v[0:1], v[6:7], v[90:91]
	s_nop 0
	v_add_f32_e32 v0, v126, v0
	v_add_f32_e32 v6, v0, v1
	v_pk_mul_f32 v[0:1], v[8:9], v[92:93]
	s_nop 0
	v_add_f32_e32 v0, v6, v0
	ds_read_b128 v[6:9], v127 offset:480
	v_add_f32_e32 v10, v0, v1
	s_waitcnt lgkmcnt(0)
	v_pk_mul_f32 v[0:1], v[6:7], v[94:95]
	s_nop 0
	v_add_f32_e32 v0, v10, v0
	v_add_f32_e32 v6, v0, v1
	v_pk_mul_f32 v[0:1], v[8:9], v[96:97]
	s_nop 0
	v_add_f32_e32 v0, v6, v0
	ds_read_b128 v[6:9], v127 offset:496
	v_add_f32_e32 v10, v0, v1
	s_waitcnt lgkmcnt(0)
	v_pk_mul_f32 v[0:1], v[6:7], v[102:103]
	s_nop 0
	v_add_f32_e32 v0, v10, v0
	v_add_f32_e32 v6, v0, v1
	v_pk_mul_f32 v[0:1], v[8:9], v[104:105]
	s_nop 0
	v_add_f32_e32 v0, v6, v0
	v_add_f32_e32 v126, v0, v1
	scratch_load_dwordx2 v[0:1], off, off offset:160 ; 8-byte Folded Reload
	s_waitcnt vmcnt(0)
	v_lshl_add_u64 v[0:1], s[10:11], 0, v[0:1]
	global_load_dword v0, v[0:1], off
	ds_read_b128 v[6:9], v127 offset:1024
	ds_read_b128 v[10:13], v127 offset:2048
	;; [unrolled: 1-line block ×3, first 2 shown]
	s_waitcnt lgkmcnt(1)
	v_pk_mul_f32 v[2:3], v[118:119], v[10:11]
	v_pk_mul_f32 v[4:5], v[120:121], v[12:13]
	s_waitcnt vmcnt(0)
	v_pk_fma_f32 v[2:3], v[0:1], v[6:7], v[2:3] op_sel_hi:[0,1,1]
	v_pk_fma_f32 v[4:5], v[0:1], v[8:9], v[4:5] op_sel_hi:[0,1,1]
	ds_read_b128 v[6:9], v127 offset:1536
	s_waitcnt lgkmcnt(1)
	v_pk_fma_f32 v[118:119], v[126:127], v[14:15], v[2:3] op_sel_hi:[0,1,1]
	v_pk_fma_f32 v[120:121], v[126:127], v[16:17], v[4:5] op_sel_hi:[0,1,1]
	scratch_store_dwordx4 off, v[118:121], off offset:184 ; 16-byte Folded Spill
	s_waitcnt lgkmcnt(0)
	v_fma_f32 v1, v118, v6, 0
	v_fmac_f32_e32 v1, v119, v7
	v_fmac_f32_e32 v1, v120, v8
	;; [unrolled: 1-line block ×3, first 2 shown]
	ds_read_b128 v[6:9], v127 offset:1040
	ds_read_b128 v[10:13], v127 offset:2064
	;; [unrolled: 1-line block ×3, first 2 shown]
	s_waitcnt lgkmcnt(1)
	v_pk_mul_f32 v[10:11], v[122:123], v[10:11]
	s_nop 0
	v_pk_fma_f32 v[6:7], v[0:1], v[6:7], v[10:11] op_sel_hi:[0,1,1]
	s_waitcnt lgkmcnt(0)
	v_pk_fma_f32 v[122:123], v[126:127], v[14:15], v[6:7] op_sel_hi:[0,1,1]
	v_pk_mul_f32 v[6:7], v[124:125], v[12:13]
	s_nop 0
	v_pk_fma_f32 v[6:7], v[0:1], v[8:9], v[6:7] op_sel_hi:[0,1,1]
	v_pk_fma_f32 v[124:125], v[126:127], v[16:17], v[6:7] op_sel_hi:[0,1,1]
	ds_read_b128 v[6:9], v127 offset:1552
	scratch_store_dwordx4 off, v[122:125], off offset:248 ; 16-byte Folded Spill
	s_waitcnt lgkmcnt(0)
	v_fmac_f32_e32 v1, v122, v6
	v_fmac_f32_e32 v1, v123, v7
	;; [unrolled: 1-line block ×4, first 2 shown]
	ds_read_b128 v[6:9], v127 offset:1056
	ds_read_b128 v[10:13], v127 offset:2080
	scratch_load_dwordx4 v[2:5], off, off offset:144 ; 16-byte Folded Reload
	ds_read_b128 v[14:17], v127 offset:544
	s_waitcnt vmcnt(0) lgkmcnt(1)
	v_pk_mul_f32 v[10:11], v[2:3], v[10:11]
	s_nop 0
	v_pk_fma_f32 v[6:7], v[0:1], v[6:7], v[10:11] op_sel_hi:[0,1,1]
	s_waitcnt lgkmcnt(0)
	v_pk_fma_f32 v[2:3], v[126:127], v[14:15], v[6:7] op_sel_hi:[0,1,1]
	v_pk_mul_f32 v[6:7], v[4:5], v[12:13]
	s_nop 0
	v_pk_fma_f32 v[6:7], v[0:1], v[8:9], v[6:7] op_sel_hi:[0,1,1]
	v_pk_fma_f32 v[4:5], v[126:127], v[16:17], v[6:7] op_sel_hi:[0,1,1]
	ds_read_b128 v[6:9], v127 offset:1568
	scratch_store_dwordx4 off, v[2:5], off offset:144 ; 16-byte Folded Spill
	s_waitcnt lgkmcnt(0)
	v_fmac_f32_e32 v1, v2, v6
	v_fmac_f32_e32 v1, v3, v7
	;; [unrolled: 1-line block ×4, first 2 shown]
	ds_read_b128 v[6:9], v127 offset:1072
	ds_read_b128 v[10:13], v127 offset:2096
	scratch_load_dwordx4 v[2:5], off, off offset:128 ; 16-byte Folded Reload
	ds_read_b128 v[14:17], v127 offset:560
	s_waitcnt vmcnt(0) lgkmcnt(1)
	v_pk_mul_f32 v[10:11], v[2:3], v[10:11]
	s_nop 0
	v_pk_fma_f32 v[6:7], v[0:1], v[6:7], v[10:11] op_sel_hi:[0,1,1]
	s_waitcnt lgkmcnt(0)
	v_pk_fma_f32 v[2:3], v[126:127], v[14:15], v[6:7] op_sel_hi:[0,1,1]
	v_pk_mul_f32 v[6:7], v[4:5], v[12:13]
	s_nop 0
	v_pk_fma_f32 v[6:7], v[0:1], v[8:9], v[6:7] op_sel_hi:[0,1,1]
	v_pk_fma_f32 v[4:5], v[126:127], v[16:17], v[6:7] op_sel_hi:[0,1,1]
	ds_read_b128 v[6:9], v127 offset:1584
	scratch_store_dwordx4 off, v[2:5], off offset:128 ; 16-byte Folded Spill
	s_waitcnt lgkmcnt(0)
	v_fmac_f32_e32 v1, v2, v6
	v_fmac_f32_e32 v1, v3, v7
	v_fmac_f32_e32 v1, v4, v8
	v_fmac_f32_e32 v1, v5, v9
	ds_read_b128 v[6:9], v127 offset:1088
	ds_read_b128 v[10:13], v127 offset:2112
	ds_read_b128 v[14:17], v127 offset:576
	s_waitcnt lgkmcnt(1)
	v_pk_mul_f32 v[10:11], v[98:99], v[10:11]
	s_nop 0
	v_pk_fma_f32 v[6:7], v[0:1], v[6:7], v[10:11] op_sel_hi:[0,1,1]
	s_waitcnt lgkmcnt(0)
	v_pk_fma_f32 v[98:99], v[126:127], v[14:15], v[6:7] op_sel_hi:[0,1,1]
	v_pk_mul_f32 v[6:7], v[100:101], v[12:13]
	s_nop 0
	v_pk_fma_f32 v[6:7], v[0:1], v[8:9], v[6:7] op_sel_hi:[0,1,1]
	v_pk_fma_f32 v[100:101], v[126:127], v[16:17], v[6:7] op_sel_hi:[0,1,1]
	ds_read_b128 v[6:9], v127 offset:1600
	scratch_store_dwordx4 off, v[98:101], off offset:168 ; 16-byte Folded Spill
	s_waitcnt lgkmcnt(0)
	v_fmac_f32_e32 v1, v98, v6
	v_fmac_f32_e32 v1, v99, v7
	v_fmac_f32_e32 v1, v100, v8
	v_fmac_f32_e32 v1, v101, v9
	ds_read_b128 v[6:9], v127 offset:1104
	ds_read_b128 v[10:13], v127 offset:2128
	ds_read_b128 v[14:17], v127 offset:592
	s_waitcnt lgkmcnt(1)
	;; [unrolled: 20-line block ×4, first 2 shown]
	v_pk_mul_f32 v[10:11], v[114:115], v[10:11]
	s_nop 0
	v_pk_fma_f32 v[6:7], v[0:1], v[6:7], v[10:11] op_sel_hi:[0,1,1]
	s_waitcnt lgkmcnt(0)
	v_pk_fma_f32 v[114:115], v[126:127], v[14:15], v[6:7] op_sel_hi:[0,1,1]
	v_pk_mul_f32 v[6:7], v[116:117], v[12:13]
	s_nop 0
	v_pk_fma_f32 v[6:7], v[0:1], v[8:9], v[6:7] op_sel_hi:[0,1,1]
	v_pk_fma_f32 v[116:117], v[126:127], v[16:17], v[6:7] op_sel_hi:[0,1,1]
	ds_read_b128 v[6:9], v127 offset:1648
	scratch_store_dwordx4 off, v[114:117], off offset:200 ; 16-byte Folded Spill
	s_waitcnt lgkmcnt(0)
	v_fmac_f32_e32 v1, v114, v6
	v_fmac_f32_e32 v1, v115, v7
	;; [unrolled: 1-line block ×4, first 2 shown]
	ds_read_b128 v[6:9], v127 offset:1152
	ds_read_b128 v[10:13], v127 offset:2176
	scratch_load_dwordx4 v[2:5], off, off   ; 16-byte Folded Reload
	ds_read_b128 v[14:17], v127 offset:640
	s_waitcnt vmcnt(0) lgkmcnt(1)
	v_pk_mul_f32 v[10:11], v[2:3], v[10:11]
	s_nop 0
	v_pk_fma_f32 v[6:7], v[0:1], v[6:7], v[10:11] op_sel_hi:[0,1,1]
	s_waitcnt lgkmcnt(0)
	v_pk_fma_f32 v[2:3], v[126:127], v[14:15], v[6:7] op_sel_hi:[0,1,1]
	v_pk_mul_f32 v[6:7], v[4:5], v[12:13]
	s_nop 0
	v_pk_fma_f32 v[6:7], v[0:1], v[8:9], v[6:7] op_sel_hi:[0,1,1]
	v_pk_fma_f32 v[4:5], v[126:127], v[16:17], v[6:7] op_sel_hi:[0,1,1]
	ds_read_b128 v[6:9], v127 offset:1664
	scratch_store_dwordx4 off, v[2:5], off  ; 16-byte Folded Spill
	s_waitcnt lgkmcnt(0)
	v_fmac_f32_e32 v1, v2, v6
	v_fmac_f32_e32 v1, v3, v7
	v_fmac_f32_e32 v1, v4, v8
	v_fmac_f32_e32 v1, v5, v9
	ds_read_b128 v[6:9], v127 offset:1168
	ds_read_b128 v[10:13], v127 offset:2192
	scratch_load_dwordx4 v[2:5], off, off offset:16 ; 16-byte Folded Reload
	ds_read_b128 v[14:17], v127 offset:656
	s_waitcnt vmcnt(0) lgkmcnt(1)
	v_pk_mul_f32 v[10:11], v[2:3], v[10:11]
	s_nop 0
	v_pk_fma_f32 v[6:7], v[0:1], v[6:7], v[10:11] op_sel_hi:[0,1,1]
	s_waitcnt lgkmcnt(0)
	v_pk_fma_f32 v[2:3], v[126:127], v[14:15], v[6:7] op_sel_hi:[0,1,1]
	v_pk_mul_f32 v[6:7], v[4:5], v[12:13]
	s_nop 0
	v_pk_fma_f32 v[6:7], v[0:1], v[8:9], v[6:7] op_sel_hi:[0,1,1]
	v_pk_fma_f32 v[4:5], v[126:127], v[16:17], v[6:7] op_sel_hi:[0,1,1]
	ds_read_b128 v[6:9], v127 offset:1680
	scratch_store_dwordx4 off, v[2:5], off offset:16 ; 16-byte Folded Spill
	s_waitcnt lgkmcnt(0)
	v_fmac_f32_e32 v1, v2, v6
	v_fmac_f32_e32 v1, v3, v7
	v_fmac_f32_e32 v1, v4, v8
	v_fmac_f32_e32 v1, v5, v9
	ds_read_b128 v[6:9], v127 offset:1184
	ds_read_b128 v[10:13], v127 offset:2208
	scratch_load_dwordx4 v[2:5], off, off offset:32 ; 16-byte Folded Reload
	ds_read_b128 v[14:17], v127 offset:672
	s_waitcnt vmcnt(0) lgkmcnt(1)
	v_pk_mul_f32 v[10:11], v[2:3], v[10:11]
	s_nop 0
	v_pk_fma_f32 v[6:7], v[0:1], v[6:7], v[10:11] op_sel_hi:[0,1,1]
	s_waitcnt lgkmcnt(0)
	v_pk_fma_f32 v[2:3], v[126:127], v[14:15], v[6:7] op_sel_hi:[0,1,1]
	v_pk_mul_f32 v[6:7], v[4:5], v[12:13]
	s_nop 0
	v_pk_fma_f32 v[6:7], v[0:1], v[8:9], v[6:7] op_sel_hi:[0,1,1]
	v_pk_fma_f32 v[4:5], v[126:127], v[16:17], v[6:7] op_sel_hi:[0,1,1]
	ds_read_b128 v[6:9], v127 offset:1696
	scratch_store_dwordx4 off, v[2:5], off offset:32 ; 16-byte Folded Spill
	;; [unrolled: 21-line block ×7, first 2 shown]
	s_waitcnt lgkmcnt(0)
	v_fmac_f32_e32 v1, v2, v6
	v_fmac_f32_e32 v1, v3, v7
	v_fmac_f32_e32 v1, v4, v8
	v_fmac_f32_e32 v1, v5, v9
	ds_read_b128 v[6:9], v127 offset:1280
	ds_read_b128 v[10:13], v127 offset:2304
	ds_read_b128 v[14:17], v127 offset:768
	s_waitcnt lgkmcnt(1)
	v_pk_mul_f32 v[10:11], v[86:87], v[10:11]
	s_nop 0
	v_pk_fma_f32 v[6:7], v[0:1], v[6:7], v[10:11] op_sel_hi:[0,1,1]
	s_waitcnt lgkmcnt(0)
	v_pk_fma_f32 v[86:87], v[126:127], v[14:15], v[6:7] op_sel_hi:[0,1,1]
	v_pk_mul_f32 v[6:7], v[88:89], v[12:13]
	s_nop 0
	v_pk_fma_f32 v[6:7], v[0:1], v[8:9], v[6:7] op_sel_hi:[0,1,1]
	v_pk_fma_f32 v[88:89], v[126:127], v[16:17], v[6:7] op_sel_hi:[0,1,1]
	ds_read_b128 v[6:9], v127 offset:1792
	v_mov_b64_e32 v[82:83], v[86:87]
	v_mov_b64_e32 v[84:85], v[88:89]
	s_waitcnt lgkmcnt(0)
	v_fmac_f32_e32 v1, v86, v6
	v_fmac_f32_e32 v1, v87, v7
	v_fmac_f32_e32 v1, v88, v8
	v_fmac_f32_e32 v1, v89, v9
	ds_read_b128 v[6:9], v127 offset:1296
	ds_read_b128 v[10:13], v127 offset:2320
	ds_read_b128 v[14:17], v127 offset:784
	s_waitcnt lgkmcnt(1)
	v_pk_mul_f32 v[10:11], v[78:79], v[10:11]
	s_nop 0
	v_pk_fma_f32 v[6:7], v[0:1], v[6:7], v[10:11] op_sel_hi:[0,1,1]
	s_waitcnt lgkmcnt(0)
	v_pk_fma_f32 v[78:79], v[126:127], v[14:15], v[6:7] op_sel_hi:[0,1,1]
	v_pk_mul_f32 v[6:7], v[80:81], v[12:13]
	s_nop 0
	v_pk_fma_f32 v[6:7], v[0:1], v[8:9], v[6:7] op_sel_hi:[0,1,1]
	v_pk_fma_f32 v[80:81], v[126:127], v[16:17], v[6:7] op_sel_hi:[0,1,1]
	ds_read_b128 v[6:9], v127 offset:1808
	v_mov_b64_e32 v[124:125], v[80:81]
	v_mov_b64_e32 v[122:123], v[78:79]
	;; [unrolled: 21-line block ×3, first 2 shown]
	s_waitcnt lgkmcnt(0)
	v_fmac_f32_e32 v1, v74, v6
	v_fmac_f32_e32 v1, v75, v7
	;; [unrolled: 1-line block ×4, first 2 shown]
	ds_read_b128 v[6:9], v127 offset:1328
	ds_read_b128 v[10:13], v127 offset:2352
	scratch_load_dwordx4 v[2:5], off, off offset:352 ; 16-byte Folded Reload
	ds_read_b128 v[14:17], v127 offset:816
	s_waitcnt vmcnt(0) lgkmcnt(1)
	v_pk_mul_f32 v[10:11], v[2:3], v[10:11]
	s_nop 0
	v_pk_fma_f32 v[6:7], v[0:1], v[6:7], v[10:11] op_sel_hi:[0,1,1]
	s_waitcnt lgkmcnt(0)
	v_pk_fma_f32 v[2:3], v[126:127], v[14:15], v[6:7] op_sel_hi:[0,1,1]
	v_pk_mul_f32 v[6:7], v[4:5], v[12:13]
	s_nop 0
	v_pk_fma_f32 v[6:7], v[0:1], v[8:9], v[6:7] op_sel_hi:[0,1,1]
	v_pk_fma_f32 v[4:5], v[126:127], v[16:17], v[6:7] op_sel_hi:[0,1,1]
	ds_read_b128 v[6:9], v127 offset:1840
	v_mov_b64_e32 v[32:33], v[4:5]
	v_mov_b64_e32 v[30:31], v[2:3]
	s_waitcnt lgkmcnt(0)
	v_fmac_f32_e32 v1, v2, v6
	v_fmac_f32_e32 v1, v3, v7
	v_fmac_f32_e32 v1, v4, v8
	v_fmac_f32_e32 v1, v5, v9
	ds_read_b128 v[6:9], v127 offset:1344
	ds_read_b128 v[10:13], v127 offset:2368
	ds_read_b128 v[14:17], v127 offset:832
	s_waitcnt lgkmcnt(1)
	v_pk_mul_f32 v[10:11], v[70:71], v[10:11]
	s_nop 0
	v_pk_fma_f32 v[6:7], v[0:1], v[6:7], v[10:11] op_sel_hi:[0,1,1]
	s_waitcnt lgkmcnt(0)
	v_pk_fma_f32 v[70:71], v[126:127], v[14:15], v[6:7] op_sel_hi:[0,1,1]
	v_pk_mul_f32 v[6:7], v[72:73], v[12:13]
	s_nop 0
	v_pk_fma_f32 v[6:7], v[0:1], v[8:9], v[6:7] op_sel_hi:[0,1,1]
	v_pk_fma_f32 v[72:73], v[126:127], v[16:17], v[6:7] op_sel_hi:[0,1,1]
	ds_read_b128 v[6:9], v127 offset:1856
	v_mov_b64_e32 v[66:67], v[70:71]
	v_mov_b64_e32 v[68:69], v[72:73]
	s_waitcnt lgkmcnt(0)
	v_fmac_f32_e32 v1, v70, v6
	v_fmac_f32_e32 v1, v71, v7
	v_fmac_f32_e32 v1, v72, v8
	v_fmac_f32_e32 v1, v73, v9
	ds_read_b128 v[6:9], v127 offset:1360
	ds_read_b128 v[10:13], v127 offset:2384
	ds_read_b128 v[14:17], v127 offset:848
	s_waitcnt lgkmcnt(1)
	;; [unrolled: 21-line block ×3, first 2 shown]
	v_pk_mul_f32 v[10:11], v[58:59], v[10:11]
	s_nop 0
	v_pk_fma_f32 v[6:7], v[0:1], v[6:7], v[10:11] op_sel_hi:[0,1,1]
	s_waitcnt lgkmcnt(0)
	v_pk_fma_f32 v[58:59], v[126:127], v[14:15], v[6:7] op_sel_hi:[0,1,1]
	v_pk_mul_f32 v[6:7], v[60:61], v[12:13]
	s_nop 0
	v_pk_fma_f32 v[6:7], v[0:1], v[8:9], v[6:7] op_sel_hi:[0,1,1]
	v_pk_fma_f32 v[60:61], v[126:127], v[16:17], v[6:7] op_sel_hi:[0,1,1]
	ds_read_b128 v[6:9], v127 offset:1888
	v_mov_b64_e32 v[104:105], v[60:61]
	v_mov_b64_e32 v[102:103], v[58:59]
	s_waitcnt lgkmcnt(0)
	v_fmac_f32_e32 v1, v58, v6
	v_fmac_f32_e32 v1, v59, v7
	;; [unrolled: 1-line block ×4, first 2 shown]
	ds_read_b128 v[6:9], v127 offset:1392
	ds_read_b128 v[10:13], v127 offset:2416
	scratch_load_dwordx4 v[2:5], off, off offset:336 ; 16-byte Folded Reload
	ds_read_b128 v[14:17], v127 offset:880
	s_waitcnt vmcnt(0) lgkmcnt(1)
	v_pk_mul_f32 v[10:11], v[2:3], v[10:11]
	s_nop 0
	v_pk_fma_f32 v[6:7], v[0:1], v[6:7], v[10:11] op_sel_hi:[0,1,1]
	s_waitcnt lgkmcnt(0)
	v_pk_fma_f32 v[2:3], v[126:127], v[14:15], v[6:7] op_sel_hi:[0,1,1]
	v_pk_mul_f32 v[6:7], v[4:5], v[12:13]
	s_nop 0
	v_pk_fma_f32 v[6:7], v[0:1], v[8:9], v[6:7] op_sel_hi:[0,1,1]
	v_pk_fma_f32 v[4:5], v[126:127], v[16:17], v[6:7] op_sel_hi:[0,1,1]
	ds_read_b128 v[6:9], v127 offset:1904
	v_mov_b64_e32 v[116:117], v[4:5]
	v_mov_b64_e32 v[114:115], v[2:3]
	s_waitcnt lgkmcnt(0)
	v_fmac_f32_e32 v1, v2, v6
	v_fmac_f32_e32 v1, v3, v7
	;; [unrolled: 1-line block ×4, first 2 shown]
	ds_read_b128 v[6:9], v127 offset:1408
	ds_read_b128 v[10:13], v127 offset:2432
	;; [unrolled: 1-line block ×3, first 2 shown]
	s_waitcnt lgkmcnt(1)
	v_pk_mul_f32 v[10:11], v[54:55], v[10:11]
	s_nop 0
	v_pk_fma_f32 v[6:7], v[0:1], v[6:7], v[10:11] op_sel_hi:[0,1,1]
	s_waitcnt lgkmcnt(0)
	v_pk_fma_f32 v[54:55], v[126:127], v[14:15], v[6:7] op_sel_hi:[0,1,1]
	v_pk_mul_f32 v[6:7], v[56:57], v[12:13]
	s_nop 0
	v_pk_fma_f32 v[6:7], v[0:1], v[8:9], v[6:7] op_sel_hi:[0,1,1]
	v_pk_fma_f32 v[56:57], v[126:127], v[16:17], v[6:7] op_sel_hi:[0,1,1]
	ds_read_b128 v[6:9], v127 offset:1920
	v_mov_b64_e32 v[50:51], v[54:55]
	v_mov_b64_e32 v[52:53], v[56:57]
	s_waitcnt lgkmcnt(0)
	v_fmac_f32_e32 v1, v54, v6
	v_fmac_f32_e32 v1, v55, v7
	;; [unrolled: 1-line block ×4, first 2 shown]
	ds_read_b128 v[6:9], v127 offset:1424
	ds_read_b128 v[10:13], v127 offset:2448
	scratch_load_dwordx4 v[2:5], off, off offset:320 ; 16-byte Folded Reload
	ds_read_b128 v[14:17], v127 offset:912
	s_waitcnt vmcnt(0) lgkmcnt(1)
	v_pk_mul_f32 v[10:11], v[2:3], v[10:11]
	s_nop 0
	v_pk_fma_f32 v[6:7], v[0:1], v[6:7], v[10:11] op_sel_hi:[0,1,1]
	s_waitcnt lgkmcnt(0)
	v_pk_fma_f32 v[2:3], v[126:127], v[14:15], v[6:7] op_sel_hi:[0,1,1]
	v_pk_mul_f32 v[6:7], v[4:5], v[12:13]
	s_nop 0
	v_pk_fma_f32 v[6:7], v[0:1], v[8:9], v[6:7] op_sel_hi:[0,1,1]
	v_pk_fma_f32 v[4:5], v[126:127], v[16:17], v[6:7] op_sel_hi:[0,1,1]
	ds_read_b128 v[6:9], v127 offset:1936
	v_mov_b64_e32 v[96:97], v[4:5]
	v_mov_b64_e32 v[94:95], v[2:3]
	s_waitcnt lgkmcnt(0)
	v_fmac_f32_e32 v1, v2, v6
	v_fmac_f32_e32 v1, v3, v7
	;; [unrolled: 1-line block ×4, first 2 shown]
	ds_read_b128 v[6:9], v127 offset:1440
	ds_read_b128 v[10:13], v127 offset:2464
	;; [unrolled: 1-line block ×3, first 2 shown]
	v_mov_b64_e32 v[2:3], v[46:47]
	v_mov_b64_e32 v[4:5], v[48:49]
	s_waitcnt lgkmcnt(1)
	v_pk_mul_f32 v[10:11], v[2:3], v[10:11]
	s_nop 0
	v_pk_fma_f32 v[6:7], v[0:1], v[6:7], v[10:11] op_sel_hi:[0,1,1]
	s_waitcnt lgkmcnt(0)
	v_pk_fma_f32 v[2:3], v[126:127], v[14:15], v[6:7] op_sel_hi:[0,1,1]
	v_pk_mul_f32 v[6:7], v[4:5], v[12:13]
	s_nop 0
	v_pk_fma_f32 v[6:7], v[0:1], v[8:9], v[6:7] op_sel_hi:[0,1,1]
	v_pk_fma_f32 v[4:5], v[126:127], v[16:17], v[6:7] op_sel_hi:[0,1,1]
	ds_read_b128 v[6:9], v127 offset:1952
	v_mov_b64_e32 v[36:37], v[4:5]
	v_mov_b64_e32 v[34:35], v[2:3]
	s_waitcnt lgkmcnt(0)
	v_fmac_f32_e32 v1, v2, v6
	v_fmac_f32_e32 v1, v3, v7
	;; [unrolled: 1-line block ×4, first 2 shown]
	ds_read_b128 v[6:9], v127 offset:1456
	ds_read_b128 v[10:13], v127 offset:2480
	;; [unrolled: 1-line block ×3, first 2 shown]
	v_mov_b64_e32 v[2:3], v[42:43]
	v_mov_b64_e32 v[4:5], v[44:45]
	s_waitcnt lgkmcnt(1)
	v_pk_mul_f32 v[10:11], v[2:3], v[10:11]
	s_nop 0
	v_pk_fma_f32 v[6:7], v[0:1], v[6:7], v[10:11] op_sel_hi:[0,1,1]
	s_waitcnt lgkmcnt(0)
	v_pk_fma_f32 v[2:3], v[126:127], v[14:15], v[6:7] op_sel_hi:[0,1,1]
	v_pk_mul_f32 v[6:7], v[4:5], v[12:13]
	s_nop 0
	v_pk_fma_f32 v[6:7], v[0:1], v[8:9], v[6:7] op_sel_hi:[0,1,1]
	v_pk_fma_f32 v[4:5], v[126:127], v[16:17], v[6:7] op_sel_hi:[0,1,1]
	ds_read_b128 v[6:9], v127 offset:1968
	v_mov_b64_e32 v[92:93], v[4:5]
	v_mov_b64_e32 v[90:91], v[2:3]
	s_waitcnt lgkmcnt(0)
	v_fmac_f32_e32 v1, v2, v6
	v_fmac_f32_e32 v1, v3, v7
	;; [unrolled: 1-line block ×4, first 2 shown]
	ds_read_b128 v[6:9], v127 offset:1472
	ds_read_b128 v[10:13], v127 offset:2496
	;; [unrolled: 1-line block ×3, first 2 shown]
	s_waitcnt lgkmcnt(1)
	v_pk_mul_f32 v[10:11], v[38:39], v[10:11]
	s_nop 0
	v_pk_fma_f32 v[6:7], v[0:1], v[6:7], v[10:11] op_sel_hi:[0,1,1]
	s_waitcnt lgkmcnt(0)
	v_pk_fma_f32 v[38:39], v[126:127], v[14:15], v[6:7] op_sel_hi:[0,1,1]
	v_pk_mul_f32 v[6:7], v[40:41], v[12:13]
	s_nop 0
	v_pk_fma_f32 v[6:7], v[0:1], v[8:9], v[6:7] op_sel_hi:[0,1,1]
	v_pk_fma_f32 v[40:41], v[126:127], v[16:17], v[6:7] op_sel_hi:[0,1,1]
	ds_read_b128 v[6:9], v127 offset:1984
	v_mov_b64_e32 v[112:113], v[40:41]
	v_mov_b64_e32 v[110:111], v[38:39]
	s_waitcnt lgkmcnt(0)
	v_fmac_f32_e32 v1, v38, v6
	v_fmac_f32_e32 v1, v39, v7
	;; [unrolled: 1-line block ×4, first 2 shown]
	ds_read_b128 v[6:9], v127 offset:1488
	ds_read_b128 v[10:13], v127 offset:2512
	scratch_load_dwordx4 v[2:5], off, off offset:304 ; 16-byte Folded Reload
	ds_read_b128 v[14:17], v127 offset:976
	s_waitcnt vmcnt(0) lgkmcnt(1)
	v_pk_mul_f32 v[10:11], v[2:3], v[10:11]
	s_nop 0
	v_pk_fma_f32 v[6:7], v[0:1], v[6:7], v[10:11] op_sel_hi:[0,1,1]
	s_waitcnt lgkmcnt(0)
	v_pk_fma_f32 v[2:3], v[126:127], v[14:15], v[6:7] op_sel_hi:[0,1,1]
	v_pk_mul_f32 v[6:7], v[4:5], v[12:13]
	s_nop 0
	v_pk_fma_f32 v[6:7], v[0:1], v[8:9], v[6:7] op_sel_hi:[0,1,1]
	v_pk_fma_f32 v[4:5], v[126:127], v[16:17], v[6:7] op_sel_hi:[0,1,1]
	ds_read_b128 v[6:9], v127 offset:2000
	v_mov_b64_e32 v[28:29], v[4:5]
	v_mov_b64_e32 v[26:27], v[2:3]
	s_waitcnt lgkmcnt(0)
	v_pk_mul_f32 v[6:7], v[2:3], v[6:7]
	s_nop 0
	v_add_f32_e32 v1, v1, v6
	v_add_f32_e32 v1, v1, v7
	v_pk_mul_f32 v[6:7], v[4:5], v[8:9]
	s_nop 0
	v_add_f32_e32 v1, v1, v6
	v_add_f32_e32 v1, v1, v7
	ds_read_b128 v[6:9], v127 offset:1504
	ds_read_b128 v[10:13], v127 offset:2528
	scratch_load_dwordx4 v[2:5], off, off offset:288 ; 16-byte Folded Reload
	ds_read_b128 v[14:17], v127 offset:992
	s_waitcnt vmcnt(0) lgkmcnt(1)
	v_pk_mul_f32 v[10:11], v[2:3], v[10:11]
	s_nop 0
	v_pk_fma_f32 v[6:7], v[0:1], v[6:7], v[10:11] op_sel_hi:[0,1,1]
	s_waitcnt lgkmcnt(0)
	v_pk_fma_f32 v[2:3], v[126:127], v[14:15], v[6:7] op_sel_hi:[0,1,1]
	v_pk_mul_f32 v[6:7], v[4:5], v[12:13]
	s_nop 0
	v_pk_fma_f32 v[6:7], v[0:1], v[8:9], v[6:7] op_sel_hi:[0,1,1]
	v_pk_fma_f32 v[4:5], v[126:127], v[16:17], v[6:7] op_sel_hi:[0,1,1]
	ds_read_b128 v[6:9], v127 offset:2016
	v_mov_b64_e32 v[24:25], v[4:5]
	v_mov_b64_e32 v[22:23], v[2:3]
	ds_read_b128 v[10:13], v127 offset:1520
	ds_read_b128 v[14:17], v127 offset:2544
	s_waitcnt lgkmcnt(2)
	v_pk_mul_f32 v[6:7], v[2:3], v[6:7]
	s_nop 0
	v_add_f32_e32 v1, v1, v6
	v_add_f32_e32 v1, v1, v7
	v_pk_mul_f32 v[6:7], v[4:5], v[8:9]
	scratch_load_dwordx4 v[2:5], off, off offset:272 ; 16-byte Folded Reload
	v_add_f32_e32 v1, v1, v6
	v_add_f32_e32 v18, v1, v7
	s_waitcnt vmcnt(0) lgkmcnt(0)
	v_pk_mul_f32 v[6:7], v[2:3], v[14:15]
	s_nop 0
	v_pk_fma_f32 v[10:11], v[0:1], v[10:11], v[6:7] op_sel_hi:[0,1,1]
	ds_read_b128 v[6:9], v127 offset:1008
	s_waitcnt lgkmcnt(0)
	v_pk_fma_f32 v[2:3], v[126:127], v[6:7], v[10:11] op_sel_hi:[0,1,1]
	v_pk_mul_f32 v[6:7], v[4:5], v[16:17]
	scratch_load_dwordx2 v[16:17], off, off offset:160 ; 8-byte Folded Reload
	v_pk_fma_f32 v[0:1], v[0:1], v[12:13], v[6:7] op_sel_hi:[0,1,1]
	v_pk_fma_f32 v[4:5], v[126:127], v[8:9], v[0:1] op_sel_hi:[0,1,1]
	ds_read_b128 v[6:9], v127 offset:2032
	s_waitcnt lgkmcnt(0)
	v_pk_mul_f32 v[0:1], v[2:3], v[6:7]
	s_nop 0
	v_add_f32_e32 v0, v18, v0
	v_add_f32_e32 v6, v0, v1
	v_pk_mul_f32 v[0:1], v[4:5], v[8:9]
	v_mov_b64_e32 v[20:21], v[4:5]
	v_add_f32_e32 v0, v6, v0
	v_add_f32_e32 v6, v0, v1
	v_mov_b64_e32 v[18:19], v[2:3]
	s_waitcnt vmcnt(0)
	v_lshl_add_u64 v[0:1], s[18:19], 0, v[16:17]
	global_store_dword v[0:1], v6, off
	scratch_load_dword v1, off, off offset:368 ; 4-byte Folded Reload
	s_nop 0
	scratch_load_dwordx2 v[6:7], off, off offset:264 ; 8-byte Folded Reload
	v_lshl_add_u64 v[16:17], v[16:17], 0, s[16:17]
	s_waitcnt vmcnt(0)
	v_add_u32_e32 v6, s22, v6
	v_cmp_ge_i32_e32 vcc, v6, v1
	s_or_b64 s[2:3], vcc, s[2:3]
	s_andn2_b64 exec, exec, s[2:3]
	s_cbranch_execnz .LBB3_2
; %bb.3:
	s_or_b64 exec, exec, s[2:3]
	scratch_load_dwordx4 v[42:45], off, off offset:128 ; 16-byte Folded Reload
	scratch_load_dwordx4 v[38:41], off, off offset:216 ; 16-byte Folded Reload
	;; [unrolled: 1-line block ×5, first 2 shown]
	scratch_load_dwordx2 v[118:119], off, off offset:376 ; 8-byte Folded Reload
.LBB3_4:
	s_or_b64 exec, exec, s[0:1]
	s_mul_i32 s0, s22, s21
	s_waitcnt vmcnt(0)
	v_add_u32_e32 v0, s0, v118
	scratch_load_dwordx4 v[118:121], off, off offset:184 ; 16-byte Folded Reload
	v_ashrrev_i32_e32 v1, 31, v0
	v_lshl_add_u64 v[0:1], v[0:1], 2, s[18:19]
	s_waitcnt vmcnt(0)
	global_store_dwordx4 v[0:1], v[118:121], off
	global_store_dwordx4 v[0:1], v[12:15], off offset:16
	global_store_dwordx4 v[0:1], v[2:5], off offset:32
	;; [unrolled: 1-line block ×3, first 2 shown]
	scratch_load_dwordx4 v[2:5], off, off offset:168 ; 16-byte Folded Reload
	s_waitcnt vmcnt(0)
	global_store_dwordx4 v[0:1], v[2:5], off offset:64
	global_store_dwordx4 v[0:1], v[8:11], off offset:80
	;; [unrolled: 1-line block ×3, first 2 shown]
	scratch_load_dwordx4 v[2:5], off, off offset:200 ; 16-byte Folded Reload
	s_waitcnt vmcnt(0)
	global_store_dwordx4 v[0:1], v[2:5], off offset:112
	scratch_load_dwordx4 v[2:5], off, off   ; 16-byte Folded Reload
	s_waitcnt vmcnt(0)
	global_store_dwordx4 v[0:1], v[2:5], off offset:128
	scratch_load_dwordx4 v[2:5], off, off offset:16 ; 16-byte Folded Reload
	s_waitcnt vmcnt(0)
	global_store_dwordx4 v[0:1], v[2:5], off offset:144
	scratch_load_dwordx4 v[2:5], off, off offset:32 ; 16-byte Folded Reload
	;; [unrolled: 3-line block ×7, first 2 shown]
	s_waitcnt vmcnt(0)
	global_store_dwordx4 v[0:1], v[2:5], off offset:240
	global_store_dwordx4 v[0:1], v[82:85], off offset:256
	;; [unrolled: 1-line block ×17, first 2 shown]
	s_endpgm
	.section	.rodata,"a",@progbits
	.p2align	6, 0x0
	.amdhsa_kernel _ZL13rwkv_wkv7_f32ILi128EEviiiiPKfS1_S1_S1_S1_S1_S1_Pf
		.amdhsa_group_segment_fixed_size 2560
		.amdhsa_private_segment_fixed_size 388
		.amdhsa_kernarg_size 80
		.amdhsa_user_sgpr_count 2
		.amdhsa_user_sgpr_dispatch_ptr 0
		.amdhsa_user_sgpr_queue_ptr 0
		.amdhsa_user_sgpr_kernarg_segment_ptr 1
		.amdhsa_user_sgpr_dispatch_id 0
		.amdhsa_user_sgpr_kernarg_preload_length 0
		.amdhsa_user_sgpr_kernarg_preload_offset 0
		.amdhsa_user_sgpr_private_segment_size 0
		.amdhsa_uses_dynamic_stack 0
		.amdhsa_enable_private_segment 1
		.amdhsa_system_sgpr_workgroup_id_x 1
		.amdhsa_system_sgpr_workgroup_id_y 0
		.amdhsa_system_sgpr_workgroup_id_z 0
		.amdhsa_system_sgpr_workgroup_info 0
		.amdhsa_system_vgpr_workitem_id 0
		.amdhsa_next_free_vgpr 128
		.amdhsa_next_free_sgpr 25
		.amdhsa_accum_offset 128
		.amdhsa_reserve_vcc 1
		.amdhsa_float_round_mode_32 0
		.amdhsa_float_round_mode_16_64 0
		.amdhsa_float_denorm_mode_32 3
		.amdhsa_float_denorm_mode_16_64 3
		.amdhsa_dx10_clamp 1
		.amdhsa_ieee_mode 1
		.amdhsa_fp16_overflow 0
		.amdhsa_tg_split 0
		.amdhsa_exception_fp_ieee_invalid_op 0
		.amdhsa_exception_fp_denorm_src 0
		.amdhsa_exception_fp_ieee_div_zero 0
		.amdhsa_exception_fp_ieee_overflow 0
		.amdhsa_exception_fp_ieee_underflow 0
		.amdhsa_exception_fp_ieee_inexact 0
		.amdhsa_exception_int_div_zero 0
	.end_amdhsa_kernel
	.section	.text._ZL13rwkv_wkv7_f32ILi128EEviiiiPKfS1_S1_S1_S1_S1_S1_Pf,"axG",@progbits,_ZL13rwkv_wkv7_f32ILi128EEviiiiPKfS1_S1_S1_S1_S1_S1_Pf,comdat
.Lfunc_end3:
	.size	_ZL13rwkv_wkv7_f32ILi128EEviiiiPKfS1_S1_S1_S1_S1_S1_Pf, .Lfunc_end3-_ZL13rwkv_wkv7_f32ILi128EEviiiiPKfS1_S1_S1_S1_S1_S1_Pf
                                        ; -- End function
	.set _ZL13rwkv_wkv7_f32ILi128EEviiiiPKfS1_S1_S1_S1_S1_S1_Pf.num_vgpr, 128
	.set _ZL13rwkv_wkv7_f32ILi128EEviiiiPKfS1_S1_S1_S1_S1_S1_Pf.num_agpr, 0
	.set _ZL13rwkv_wkv7_f32ILi128EEviiiiPKfS1_S1_S1_S1_S1_S1_Pf.numbered_sgpr, 25
	.set _ZL13rwkv_wkv7_f32ILi128EEviiiiPKfS1_S1_S1_S1_S1_S1_Pf.num_named_barrier, 0
	.set _ZL13rwkv_wkv7_f32ILi128EEviiiiPKfS1_S1_S1_S1_S1_S1_Pf.private_seg_size, 388
	.set _ZL13rwkv_wkv7_f32ILi128EEviiiiPKfS1_S1_S1_S1_S1_S1_Pf.uses_vcc, 1
	.set _ZL13rwkv_wkv7_f32ILi128EEviiiiPKfS1_S1_S1_S1_S1_S1_Pf.uses_flat_scratch, 0
	.set _ZL13rwkv_wkv7_f32ILi128EEviiiiPKfS1_S1_S1_S1_S1_S1_Pf.has_dyn_sized_stack, 0
	.set _ZL13rwkv_wkv7_f32ILi128EEviiiiPKfS1_S1_S1_S1_S1_S1_Pf.has_recursion, 0
	.set _ZL13rwkv_wkv7_f32ILi128EEviiiiPKfS1_S1_S1_S1_S1_S1_Pf.has_indirect_call, 0
	.section	.AMDGPU.csdata,"",@progbits
; Kernel info:
; codeLenInByte = 7196
; TotalNumSgprs: 31
; NumVgprs: 128
; NumAgprs: 0
; TotalNumVgprs: 128
; ScratchSize: 388
; MemoryBound: 1
; FloatMode: 240
; IeeeMode: 1
; LDSByteSize: 2560 bytes/workgroup (compile time only)
; SGPRBlocks: 3
; VGPRBlocks: 15
; NumSGPRsForWavesPerEU: 31
; NumVGPRsForWavesPerEU: 128
; AccumOffset: 128
; Occupancy: 4
; WaveLimiterHint : 0
; COMPUTE_PGM_RSRC2:SCRATCH_EN: 1
; COMPUTE_PGM_RSRC2:USER_SGPR: 2
; COMPUTE_PGM_RSRC2:TRAP_HANDLER: 0
; COMPUTE_PGM_RSRC2:TGID_X_EN: 1
; COMPUTE_PGM_RSRC2:TGID_Y_EN: 0
; COMPUTE_PGM_RSRC2:TGID_Z_EN: 0
; COMPUTE_PGM_RSRC2:TIDIG_COMP_CNT: 0
; COMPUTE_PGM_RSRC3_GFX90A:ACCUM_OFFSET: 31
; COMPUTE_PGM_RSRC3_GFX90A:TG_SPLIT: 0
	.section	.AMDGPU.gpr_maximums,"",@progbits
	.set amdgpu.max_num_vgpr, 0
	.set amdgpu.max_num_agpr, 0
	.set amdgpu.max_num_sgpr, 0
	.section	.AMDGPU.csdata,"",@progbits
	.type	__hip_cuid_55824ac017552977,@object ; @__hip_cuid_55824ac017552977
	.section	.bss,"aw",@nobits
	.globl	__hip_cuid_55824ac017552977
__hip_cuid_55824ac017552977:
	.byte	0                               ; 0x0
	.size	__hip_cuid_55824ac017552977, 1

	.ident	"AMD clang version 22.0.0git (https://github.com/RadeonOpenCompute/llvm-project roc-7.2.4 26084 f58b06dce1f9c15707c5f808fd002e18c2accf7e)"
	.section	".note.GNU-stack","",@progbits
	.addrsig
	.addrsig_sym __hip_cuid_55824ac017552977
	.amdgpu_metadata
---
amdhsa.kernels:
  - .agpr_count:     0
    .args:
      - .offset:         0
        .size:           4
        .value_kind:     by_value
      - .offset:         4
        .size:           4
        .value_kind:     by_value
      - .offset:         8
        .size:           4
        .value_kind:     by_value
      - .offset:         12
        .size:           4
        .value_kind:     by_value
      - .address_space:  global
        .offset:         16
        .size:           8
        .value_kind:     global_buffer
      - .address_space:  global
        .offset:         24
        .size:           8
        .value_kind:     global_buffer
      - .address_space:  global
        .offset:         32
        .size:           8
        .value_kind:     global_buffer
      - .address_space:  global
        .offset:         40
        .size:           8
        .value_kind:     global_buffer
      - .address_space:  global
        .offset:         48
        .size:           8
        .value_kind:     global_buffer
      - .address_space:  global
        .offset:         56
        .size:           8
        .value_kind:     global_buffer
      - .address_space:  global
        .offset:         64
        .size:           8
        .value_kind:     global_buffer
    .group_segment_fixed_size: 1024
    .kernarg_segment_align: 8
    .kernarg_segment_size: 72
    .language:       OpenCL C
    .language_version:
      - 2
      - 0
    .max_flat_workgroup_size: 1024
    .name:           _ZL12rwkv_wkv_f32ILi64EEviiiiPKfS1_S1_S1_S1_S1_Pf
    .private_segment_fixed_size: 0
    .sgpr_count:     30
    .sgpr_spill_count: 0
    .symbol:         _ZL12rwkv_wkv_f32ILi64EEviiiiPKfS1_S1_S1_S1_S1_Pf.kd
    .uniform_work_group_size: 1
    .uses_dynamic_stack: false
    .vgpr_count:     102
    .vgpr_spill_count: 0
    .wavefront_size: 64
  - .agpr_count:     0
    .args:
      - .offset:         0
        .size:           4
        .value_kind:     by_value
      - .offset:         4
        .size:           4
        .value_kind:     by_value
      - .offset:         8
        .size:           4
        .value_kind:     by_value
      - .offset:         12
        .size:           4
        .value_kind:     by_value
      - .address_space:  global
        .offset:         16
        .size:           8
        .value_kind:     global_buffer
      - .address_space:  global
        .offset:         24
        .size:           8
        .value_kind:     global_buffer
      - .address_space:  global
        .offset:         32
        .size:           8
        .value_kind:     global_buffer
      - .address_space:  global
        .offset:         40
        .size:           8
        .value_kind:     global_buffer
      - .address_space:  global
        .offset:         48
        .size:           8
        .value_kind:     global_buffer
      - .address_space:  global
        .offset:         56
        .size:           8
        .value_kind:     global_buffer
      - .address_space:  global
        .offset:         64
        .size:           8
        .value_kind:     global_buffer
    .group_segment_fixed_size: 2048
    .kernarg_segment_align: 8
    .kernarg_segment_size: 72
    .language:       OpenCL C
    .language_version:
      - 2
      - 0
    .max_flat_workgroup_size: 1024
    .name:           _ZL12rwkv_wkv_f32ILi128EEviiiiPKfS1_S1_S1_S1_S1_Pf
    .private_segment_fixed_size: 172
    .sgpr_count:     30
    .sgpr_spill_count: 0
    .symbol:         _ZL12rwkv_wkv_f32ILi128EEviiiiPKfS1_S1_S1_S1_S1_Pf.kd
    .uniform_work_group_size: 1
    .uses_dynamic_stack: false
    .vgpr_count:     128
    .vgpr_spill_count: 60
    .wavefront_size: 64
  - .agpr_count:     0
    .args:
      - .offset:         0
        .size:           4
        .value_kind:     by_value
      - .offset:         4
        .size:           4
        .value_kind:     by_value
      - .offset:         8
        .size:           4
        .value_kind:     by_value
      - .offset:         12
        .size:           4
        .value_kind:     by_value
      - .address_space:  global
        .offset:         16
        .size:           8
        .value_kind:     global_buffer
      - .address_space:  global
        .offset:         24
        .size:           8
        .value_kind:     global_buffer
      - .address_space:  global
        .offset:         32
        .size:           8
        .value_kind:     global_buffer
      - .address_space:  global
        .offset:         40
        .size:           8
        .value_kind:     global_buffer
      - .address_space:  global
        .offset:         48
        .size:           8
        .value_kind:     global_buffer
      - .address_space:  global
        .offset:         56
        .size:           8
        .value_kind:     global_buffer
      - .address_space:  global
        .offset:         64
        .size:           8
        .value_kind:     global_buffer
      - .address_space:  global
        .offset:         72
        .size:           8
        .value_kind:     global_buffer
    .group_segment_fixed_size: 1280
    .kernarg_segment_align: 8
    .kernarg_segment_size: 80
    .language:       OpenCL C
    .language_version:
      - 2
      - 0
    .max_flat_workgroup_size: 1024
    .name:           _ZL13rwkv_wkv7_f32ILi64EEviiiiPKfS1_S1_S1_S1_S1_S1_Pf
    .private_segment_fixed_size: 0
    .sgpr_count:     31
    .sgpr_spill_count: 0
    .symbol:         _ZL13rwkv_wkv7_f32ILi64EEviiiiPKfS1_S1_S1_S1_S1_S1_Pf.kd
    .uniform_work_group_size: 1
    .uses_dynamic_stack: false
    .vgpr_count:     102
    .vgpr_spill_count: 0
    .wavefront_size: 64
  - .agpr_count:     0
    .args:
      - .offset:         0
        .size:           4
        .value_kind:     by_value
      - .offset:         4
        .size:           4
        .value_kind:     by_value
      - .offset:         8
        .size:           4
        .value_kind:     by_value
      - .offset:         12
        .size:           4
        .value_kind:     by_value
      - .address_space:  global
        .offset:         16
        .size:           8
        .value_kind:     global_buffer
      - .address_space:  global
        .offset:         24
        .size:           8
        .value_kind:     global_buffer
      - .address_space:  global
        .offset:         32
        .size:           8
        .value_kind:     global_buffer
      - .address_space:  global
        .offset:         40
        .size:           8
        .value_kind:     global_buffer
      - .address_space:  global
        .offset:         48
        .size:           8
        .value_kind:     global_buffer
      - .address_space:  global
        .offset:         56
        .size:           8
        .value_kind:     global_buffer
      - .address_space:  global
        .offset:         64
        .size:           8
        .value_kind:     global_buffer
      - .address_space:  global
        .offset:         72
        .size:           8
        .value_kind:     global_buffer
    .group_segment_fixed_size: 2560
    .kernarg_segment_align: 8
    .kernarg_segment_size: 80
    .language:       OpenCL C
    .language_version:
      - 2
      - 0
    .max_flat_workgroup_size: 1024
    .name:           _ZL13rwkv_wkv7_f32ILi128EEviiiiPKfS1_S1_S1_S1_S1_S1_Pf
    .private_segment_fixed_size: 388
    .sgpr_count:     31
    .sgpr_spill_count: 0
    .symbol:         _ZL13rwkv_wkv7_f32ILi128EEviiiiPKfS1_S1_S1_S1_S1_S1_Pf.kd
    .uniform_work_group_size: 1
    .uses_dynamic_stack: false
    .vgpr_count:     128
    .vgpr_spill_count: 192
    .wavefront_size: 64
amdhsa.target:   amdgcn-amd-amdhsa--gfx950
amdhsa.version:
  - 1
  - 2
...

	.end_amdgpu_metadata
